;; amdgpu-corpus repo=ROCm/rocFFT kind=compiled arch=gfx1201 opt=O3
	.text
	.amdgcn_target "amdgcn-amd-amdhsa--gfx1201"
	.amdhsa_code_object_version 6
	.protected	fft_rtc_back_len64_factors_4_4_2_2_wgs_64_tpt_4_halfLds_dim2_dp_ip_CI_sbcc_twdbase6_3step_dirReg_intrinsicReadWrite ; -- Begin function fft_rtc_back_len64_factors_4_4_2_2_wgs_64_tpt_4_halfLds_dim2_dp_ip_CI_sbcc_twdbase6_3step_dirReg_intrinsicReadWrite
	.globl	fft_rtc_back_len64_factors_4_4_2_2_wgs_64_tpt_4_halfLds_dim2_dp_ip_CI_sbcc_twdbase6_3step_dirReg_intrinsicReadWrite
	.p2align	8
	.type	fft_rtc_back_len64_factors_4_4_2_2_wgs_64_tpt_4_halfLds_dim2_dp_ip_CI_sbcc_twdbase6_3step_dirReg_intrinsicReadWrite,@function
fft_rtc_back_len64_factors_4_4_2_2_wgs_64_tpt_4_halfLds_dim2_dp_ip_CI_sbcc_twdbase6_3step_dirReg_intrinsicReadWrite: ; @fft_rtc_back_len64_factors_4_4_2_2_wgs_64_tpt_4_halfLds_dim2_dp_ip_CI_sbcc_twdbase6_3step_dirReg_intrinsicReadWrite
; %bb.0:
	s_clause 0x2
	s_load_b64 s[2:3], s[0:1], 0x50
	s_load_b64 s[8:9], s[0:1], 0x0
	s_load_b128 s[4:7], s[0:1], 0x10
	s_mov_b32 s10, exec_lo
	v_cmpx_gt_u32_e32 0xc0, v0
	s_cbranch_execz .LBB0_3
; %bb.1:
	s_load_b64 s[0:1], s[0:1], 0x8
	v_dual_mov_b32 v2, -1 :: v_dual_lshlrev_b32 v5, 4, v0
	v_or_b32_e32 v1, 0xffffffc0, v0
	s_wait_kmcnt 0x0
	s_delay_alu instid0(VALU_DEP_2)
	v_add_co_u32 v3, s0, s0, v5
	s_wait_alu 0xf1ff
	v_add_co_ci_u32_e64 v4, null, s1, 0, s0
	v_add3_u32 v5, v5, 0, 0x2000
	s_mov_b32 s1, 0
.LBB0_2:                                ; =>This Inner Loop Header: Depth=1
	global_load_b128 v[6:9], v[3:4], off
	v_add_co_u32 v1, vcc_lo, v1, 64
	s_wait_alu 0xfffd
	v_add_co_ci_u32_e32 v2, vcc_lo, 0, v2, vcc_lo
	v_add_co_u32 v3, vcc_lo, 0x400, v3
	s_wait_alu 0xfffd
	v_add_co_ci_u32_e32 v4, vcc_lo, 0, v4, vcc_lo
	s_delay_alu instid0(VALU_DEP_3) | instskip(SKIP_1) | instid1(VALU_DEP_1)
	v_cmp_lt_u64_e64 s0, 0x7f, v[1:2]
	s_wait_alu 0xfffe
	s_or_b32 s1, s0, s1
	s_wait_loadcnt 0x0
	ds_store_2addr_b64 v5, v[6:7], v[8:9] offset1:1
	v_add_nc_u32_e32 v5, 0x400, v5
	s_wait_alu 0xfffe
	s_and_not1_b32 exec_lo, exec_lo, s1
	s_cbranch_execnz .LBB0_2
.LBB0_3:
	s_or_b32 exec_lo, exec_lo, s10
	s_wait_kmcnt 0x0
	s_load_b64 s[4:5], s[4:5], 0x8
	s_load_b64 s[0:1], s[6:7], 0x0
	s_mov_b32 s10, ttmp9
	s_mov_b32 s11, 0
	s_mov_b64 s[14:15], 0
	s_wait_kmcnt 0x0
	s_add_nc_u64 s[12:13], s[4:5], -1
	s_delay_alu instid0(SALU_CYCLE_1) | instskip(NEXT) | instid1(SALU_CYCLE_1)
	s_lshr_b64 s[12:13], s[12:13], 4
	s_add_nc_u64 s[12:13], s[12:13], 1
	s_delay_alu instid0(SALU_CYCLE_1) | instskip(NEXT) | instid1(VALU_DEP_1)
	v_cmp_lt_u64_e64 s1, s[10:11], s[12:13]
	s_and_b32 vcc_lo, exec_lo, s1
	s_wait_alu 0xfffe
	s_cbranch_vccnz .LBB0_5
; %bb.4:
	v_cvt_f32_u32_e32 v1, s12
	s_sub_co_i32 s14, 0, s12
	s_delay_alu instid0(VALU_DEP_1) | instskip(NEXT) | instid1(TRANS32_DEP_1)
	v_rcp_iflag_f32_e32 v1, v1
	v_mul_f32_e32 v1, 0x4f7ffffe, v1
	s_delay_alu instid0(VALU_DEP_1) | instskip(NEXT) | instid1(VALU_DEP_1)
	v_cvt_u32_f32_e32 v1, v1
	v_readfirstlane_b32 s1, v1
	s_delay_alu instid0(VALU_DEP_1) | instskip(NEXT) | instid1(SALU_CYCLE_1)
	s_mul_i32 s14, s14, s1
	s_mul_hi_u32 s14, s1, s14
	s_delay_alu instid0(SALU_CYCLE_1)
	s_add_co_i32 s1, s1, s14
	s_wait_alu 0xfffe
	s_mul_hi_u32 s1, s10, s1
	s_wait_alu 0xfffe
	s_mul_i32 s14, s1, s12
	s_add_co_i32 s15, s1, 1
	s_sub_co_i32 s14, s10, s14
	s_delay_alu instid0(SALU_CYCLE_1)
	s_sub_co_i32 s16, s14, s12
	s_cmp_ge_u32 s14, s12
	s_cselect_b32 s1, s15, s1
	s_cselect_b32 s14, s16, s14
	s_wait_alu 0xfffe
	s_add_co_i32 s15, s1, 1
	s_cmp_ge_u32 s14, s12
	s_cselect_b32 s14, s15, s1
	s_mov_b32 s15, s11
.LBB0_5:
	s_load_b128 s[16:19], s[6:7], 0x8
	v_dual_mov_b32 v3, 0 :: v_dual_and_b32 v72, 15, v0
	s_mul_u64 s[6:7], s[14:15], s[12:13]
	s_delay_alu instid0(SALU_CYCLE_1) | instskip(NEXT) | instid1(SALU_CYCLE_1)
	s_sub_nc_u64 s[6:7], s[10:11], s[6:7]
	s_lshl_b64 s[6:7], s[6:7], 4
	s_delay_alu instid0(VALU_DEP_1) | instid1(SALU_CYCLE_1)
	v_or_b32_e32 v67, s6, v72
	s_add_nc_u64 s[10:11], s[6:7], 16
	s_wait_alu 0xfffe
	v_cmp_le_u64_e64 s1, s[10:11], s[4:5]
	s_wait_kmcnt 0x0
	v_mad_co_u64_u32 v[65:66], null, s16, v72, 0
	v_mov_b32_e32 v4, 0
	s_mul_u64 s[10:11], s[18:19], s[14:15]
	s_delay_alu instid0(VALU_DEP_2) | instskip(NEXT) | instid1(VALU_DEP_2)
	v_dual_mov_b32 v1, v66 :: v_dual_mov_b32 v68, s7
	v_dual_mov_b32 v8, v4 :: v_dual_mov_b32 v7, v3
	;; [unrolled: 1-line block ×3, first 2 shown]
	s_delay_alu instid0(VALU_DEP_3)
	v_cmp_gt_u64_e32 vcc_lo, s[4:5], v[67:68]
	v_lshrrev_b32_e32 v66, 4, v0
	s_mul_u64 s[6:7], s[6:7], s[16:17]
	v_mad_co_u64_u32 v[1:2], null, s17, v72, v[1:2]
	s_wait_alu 0xfffe
	s_add_nc_u64 s[4:5], s[10:11], s[6:7]
	s_or_b32 s1, s1, vcc_lo
	s_wait_alu 0xfffe
	s_and_saveexec_b32 s5, s1
	s_cbranch_execz .LBB0_7
; %bb.6:
	v_mul_lo_u32 v1, s0, v66
	v_mov_b32_e32 v2, 0
	s_delay_alu instid0(VALU_DEP_2) | instskip(NEXT) | instid1(VALU_DEP_1)
	v_add3_u32 v1, s4, v65, v1
	v_lshlrev_b64_e32 v[1:2], 4, v[1:2]
	s_delay_alu instid0(VALU_DEP_1) | instskip(SKIP_1) | instid1(VALU_DEP_2)
	v_add_co_u32 v1, vcc_lo, s2, v1
	s_wait_alu 0xfffd
	v_add_co_ci_u32_e32 v2, vcc_lo, s3, v2, vcc_lo
	global_load_b128 v[5:8], v[1:2], off
.LBB0_7:
	s_wait_alu 0xfffe
	s_or_b32 exec_lo, exec_lo, s5
	v_mov_b32_e32 v1, v3
	v_dual_mov_b32 v2, v4 :: v_dual_add_nc_u32 v71, 16, v66
	s_and_saveexec_b32 s5, s1
	s_cbranch_execz .LBB0_9
; %bb.8:
	s_delay_alu instid0(VALU_DEP_1) | instskip(SKIP_1) | instid1(VALU_DEP_2)
	v_mul_lo_u32 v1, s0, v71
	v_mov_b32_e32 v2, 0
	v_add3_u32 v1, s4, v65, v1
	s_delay_alu instid0(VALU_DEP_1) | instskip(NEXT) | instid1(VALU_DEP_1)
	v_lshlrev_b64_e32 v[1:2], 4, v[1:2]
	v_add_co_u32 v1, vcc_lo, s2, v1
	s_wait_alu 0xfffd
	s_delay_alu instid0(VALU_DEP_2)
	v_add_co_ci_u32_e32 v2, vcc_lo, s3, v2, vcc_lo
	global_load_b128 v[1:4], v[1:2], off
.LBB0_9:
	s_wait_alu 0xfffe
	s_or_b32 exec_lo, exec_lo, s5
	v_mov_b32_e32 v11, 0
	v_mov_b32_e32 v12, 0
	s_delay_alu instid0(VALU_DEP_1)
	v_dual_mov_b32 v16, v12 :: v_dual_mov_b32 v15, v11
	v_dual_mov_b32 v14, v12 :: v_dual_mov_b32 v13, v11
	s_and_saveexec_b32 s5, s1
	s_cbranch_execz .LBB0_11
; %bb.10:
	v_dual_mov_b32 v10, 0 :: v_dual_add_nc_u32 v9, 32, v66
	s_delay_alu instid0(VALU_DEP_1) | instskip(NEXT) | instid1(VALU_DEP_1)
	v_mul_lo_u32 v9, s0, v9
	v_add3_u32 v9, s4, v65, v9
	s_delay_alu instid0(VALU_DEP_1) | instskip(NEXT) | instid1(VALU_DEP_1)
	v_lshlrev_b64_e32 v[9:10], 4, v[9:10]
	v_add_co_u32 v9, vcc_lo, s2, v9
	s_wait_alu 0xfffd
	s_delay_alu instid0(VALU_DEP_2)
	v_add_co_ci_u32_e32 v10, vcc_lo, s3, v10, vcc_lo
	global_load_b128 v[13:16], v[9:10], off
.LBB0_11:
	s_wait_alu 0xfffe
	s_or_b32 exec_lo, exec_lo, s5
	v_dual_mov_b32 v9, v11 :: v_dual_mov_b32 v10, v12
	s_and_saveexec_b32 s5, s1
	s_cbranch_execz .LBB0_13
; %bb.12:
	v_dual_mov_b32 v10, 0 :: v_dual_add_nc_u32 v9, 48, v66
	s_delay_alu instid0(VALU_DEP_1) | instskip(NEXT) | instid1(VALU_DEP_1)
	v_mul_lo_u32 v9, s0, v9
	v_add3_u32 v9, s4, v65, v9
	s_delay_alu instid0(VALU_DEP_1) | instskip(NEXT) | instid1(VALU_DEP_1)
	v_lshlrev_b64_e32 v[9:10], 4, v[9:10]
	v_add_co_u32 v9, vcc_lo, s2, v9
	s_wait_alu 0xfffd
	s_delay_alu instid0(VALU_DEP_2)
	v_add_co_ci_u32_e32 v10, vcc_lo, s3, v10, vcc_lo
	global_load_b128 v[9:12], v[9:10], off
.LBB0_13:
	s_wait_alu 0xfffe
	s_or_b32 exec_lo, exec_lo, s5
	v_dual_mov_b32 v19, 0 :: v_dual_add_nc_u32 v68, 4, v66
	v_mov_b32_e32 v20, 0
	s_delay_alu instid0(VALU_DEP_1)
	v_dual_mov_b32 v24, v20 :: v_dual_mov_b32 v23, v19
	v_dual_mov_b32 v22, v20 :: v_dual_mov_b32 v21, v19
	s_and_saveexec_b32 s5, s1
	s_cbranch_execz .LBB0_15
; %bb.14:
	v_mul_lo_u32 v17, s0, v68
	v_mov_b32_e32 v18, 0
	s_delay_alu instid0(VALU_DEP_2) | instskip(NEXT) | instid1(VALU_DEP_1)
	v_add3_u32 v17, s4, v65, v17
	v_lshlrev_b64_e32 v[17:18], 4, v[17:18]
	s_delay_alu instid0(VALU_DEP_1) | instskip(SKIP_1) | instid1(VALU_DEP_2)
	v_add_co_u32 v17, vcc_lo, s2, v17
	s_wait_alu 0xfffd
	v_add_co_ci_u32_e32 v18, vcc_lo, s3, v18, vcc_lo
	global_load_b128 v[21:24], v[17:18], off
.LBB0_15:
	s_wait_alu 0xfffe
	s_or_b32 exec_lo, exec_lo, s5
	v_mov_b32_e32 v17, v19
	v_dual_mov_b32 v18, v20 :: v_dual_add_nc_u32 v73, 20, v66
	s_and_saveexec_b32 s5, s1
	s_cbranch_execz .LBB0_17
; %bb.16:
	s_delay_alu instid0(VALU_DEP_1) | instskip(SKIP_1) | instid1(VALU_DEP_2)
	v_mul_lo_u32 v17, s0, v73
	v_mov_b32_e32 v18, 0
	v_add3_u32 v17, s4, v65, v17
	s_delay_alu instid0(VALU_DEP_1) | instskip(NEXT) | instid1(VALU_DEP_1)
	v_lshlrev_b64_e32 v[17:18], 4, v[17:18]
	v_add_co_u32 v17, vcc_lo, s2, v17
	s_wait_alu 0xfffd
	s_delay_alu instid0(VALU_DEP_2)
	v_add_co_ci_u32_e32 v18, vcc_lo, s3, v18, vcc_lo
	global_load_b128 v[17:20], v[17:18], off
.LBB0_17:
	s_wait_alu 0xfffe
	s_or_b32 exec_lo, exec_lo, s5
	v_mov_b32_e32 v27, 0
	v_mov_b32_e32 v28, 0
	s_delay_alu instid0(VALU_DEP_1)
	v_dual_mov_b32 v32, v28 :: v_dual_mov_b32 v31, v27
	v_dual_mov_b32 v30, v28 :: v_dual_mov_b32 v29, v27
	s_and_saveexec_b32 s5, s1
	s_cbranch_execz .LBB0_19
; %bb.18:
	v_dual_mov_b32 v26, 0 :: v_dual_add_nc_u32 v25, 36, v66
	s_delay_alu instid0(VALU_DEP_1) | instskip(NEXT) | instid1(VALU_DEP_1)
	v_mul_lo_u32 v25, s0, v25
	v_add3_u32 v25, s4, v65, v25
	s_delay_alu instid0(VALU_DEP_1) | instskip(NEXT) | instid1(VALU_DEP_1)
	v_lshlrev_b64_e32 v[25:26], 4, v[25:26]
	v_add_co_u32 v25, vcc_lo, s2, v25
	s_wait_alu 0xfffd
	s_delay_alu instid0(VALU_DEP_2)
	v_add_co_ci_u32_e32 v26, vcc_lo, s3, v26, vcc_lo
	global_load_b128 v[29:32], v[25:26], off
.LBB0_19:
	s_wait_alu 0xfffe
	s_or_b32 exec_lo, exec_lo, s5
	v_dual_mov_b32 v25, v27 :: v_dual_mov_b32 v26, v28
	s_and_saveexec_b32 s5, s1
	s_cbranch_execz .LBB0_21
; %bb.20:
	v_dual_mov_b32 v26, 0 :: v_dual_add_nc_u32 v25, 52, v66
	s_delay_alu instid0(VALU_DEP_1) | instskip(NEXT) | instid1(VALU_DEP_1)
	v_mul_lo_u32 v25, s0, v25
	v_add3_u32 v25, s4, v65, v25
	s_delay_alu instid0(VALU_DEP_1) | instskip(NEXT) | instid1(VALU_DEP_1)
	v_lshlrev_b64_e32 v[25:26], 4, v[25:26]
	v_add_co_u32 v25, vcc_lo, s2, v25
	s_wait_alu 0xfffd
	s_delay_alu instid0(VALU_DEP_2)
	v_add_co_ci_u32_e32 v26, vcc_lo, s3, v26, vcc_lo
	global_load_b128 v[25:28], v[25:26], off
.LBB0_21:
	s_wait_alu 0xfffe
	s_or_b32 exec_lo, exec_lo, s5
	v_mov_b32_e32 v35, 0
	v_dual_mov_b32 v36, 0 :: v_dual_add_nc_u32 v69, 8, v66
	s_delay_alu instid0(VALU_DEP_1)
	v_dual_mov_b32 v40, v36 :: v_dual_mov_b32 v39, v35
	v_dual_mov_b32 v38, v36 :: v_dual_mov_b32 v37, v35
	s_and_saveexec_b32 s5, s1
	s_cbranch_execz .LBB0_23
; %bb.22:
	v_mul_lo_u32 v33, s0, v69
	v_mov_b32_e32 v34, 0
	s_delay_alu instid0(VALU_DEP_2) | instskip(NEXT) | instid1(VALU_DEP_1)
	v_add3_u32 v33, s4, v65, v33
	v_lshlrev_b64_e32 v[33:34], 4, v[33:34]
	s_delay_alu instid0(VALU_DEP_1) | instskip(SKIP_1) | instid1(VALU_DEP_2)
	v_add_co_u32 v33, vcc_lo, s2, v33
	s_wait_alu 0xfffd
	v_add_co_ci_u32_e32 v34, vcc_lo, s3, v34, vcc_lo
	global_load_b128 v[37:40], v[33:34], off
.LBB0_23:
	s_wait_alu 0xfffe
	s_or_b32 exec_lo, exec_lo, s5
	v_dual_mov_b32 v33, v35 :: v_dual_add_nc_u32 v74, 24, v66
	v_mov_b32_e32 v34, v36
	s_and_saveexec_b32 s5, s1
	s_cbranch_execz .LBB0_25
; %bb.24:
	s_delay_alu instid0(VALU_DEP_2) | instskip(SKIP_1) | instid1(VALU_DEP_2)
	v_mul_lo_u32 v33, s0, v74
	v_mov_b32_e32 v34, 0
	v_add3_u32 v33, s4, v65, v33
	s_delay_alu instid0(VALU_DEP_1) | instskip(NEXT) | instid1(VALU_DEP_1)
	v_lshlrev_b64_e32 v[33:34], 4, v[33:34]
	v_add_co_u32 v33, vcc_lo, s2, v33
	s_wait_alu 0xfffd
	s_delay_alu instid0(VALU_DEP_2)
	v_add_co_ci_u32_e32 v34, vcc_lo, s3, v34, vcc_lo
	global_load_b128 v[33:36], v[33:34], off
.LBB0_25:
	s_wait_alu 0xfffe
	s_or_b32 exec_lo, exec_lo, s5
	v_mov_b32_e32 v43, 0
	v_mov_b32_e32 v44, 0
	s_delay_alu instid0(VALU_DEP_1)
	v_dual_mov_b32 v48, v44 :: v_dual_mov_b32 v47, v43
	v_dual_mov_b32 v46, v44 :: v_dual_mov_b32 v45, v43
	s_and_saveexec_b32 s5, s1
	s_cbranch_execz .LBB0_27
; %bb.26:
	v_dual_mov_b32 v42, 0 :: v_dual_add_nc_u32 v41, 40, v66
	s_delay_alu instid0(VALU_DEP_1) | instskip(NEXT) | instid1(VALU_DEP_1)
	v_mul_lo_u32 v41, s0, v41
	v_add3_u32 v41, s4, v65, v41
	s_delay_alu instid0(VALU_DEP_1) | instskip(NEXT) | instid1(VALU_DEP_1)
	v_lshlrev_b64_e32 v[41:42], 4, v[41:42]
	v_add_co_u32 v41, vcc_lo, s2, v41
	s_wait_alu 0xfffd
	s_delay_alu instid0(VALU_DEP_2)
	v_add_co_ci_u32_e32 v42, vcc_lo, s3, v42, vcc_lo
	global_load_b128 v[45:48], v[41:42], off
.LBB0_27:
	s_wait_alu 0xfffe
	s_or_b32 exec_lo, exec_lo, s5
	v_dual_mov_b32 v41, v43 :: v_dual_mov_b32 v42, v44
	s_and_saveexec_b32 s5, s1
	s_cbranch_execz .LBB0_29
; %bb.28:
	v_dual_mov_b32 v42, 0 :: v_dual_add_nc_u32 v41, 56, v66
	s_delay_alu instid0(VALU_DEP_1) | instskip(NEXT) | instid1(VALU_DEP_1)
	v_mul_lo_u32 v41, s0, v41
	v_add3_u32 v41, s4, v65, v41
	s_delay_alu instid0(VALU_DEP_1) | instskip(NEXT) | instid1(VALU_DEP_1)
	v_lshlrev_b64_e32 v[41:42], 4, v[41:42]
	v_add_co_u32 v41, vcc_lo, s2, v41
	s_wait_alu 0xfffd
	s_delay_alu instid0(VALU_DEP_2)
	v_add_co_ci_u32_e32 v42, vcc_lo, s3, v42, vcc_lo
	global_load_b128 v[41:44], v[41:42], off
.LBB0_29:
	s_wait_alu 0xfffe
	s_or_b32 exec_lo, exec_lo, s5
	v_dual_mov_b32 v51, 0 :: v_dual_add_nc_u32 v70, 12, v66
	v_mov_b32_e32 v52, 0
	s_delay_alu instid0(VALU_DEP_1)
	v_dual_mov_b32 v56, v52 :: v_dual_mov_b32 v55, v51
	v_dual_mov_b32 v54, v52 :: v_dual_mov_b32 v53, v51
	s_and_saveexec_b32 s5, s1
	s_cbranch_execz .LBB0_31
; %bb.30:
	v_mul_lo_u32 v49, s0, v70
	v_mov_b32_e32 v50, 0
	s_delay_alu instid0(VALU_DEP_2) | instskip(NEXT) | instid1(VALU_DEP_1)
	v_add3_u32 v49, s4, v65, v49
	v_lshlrev_b64_e32 v[49:50], 4, v[49:50]
	s_delay_alu instid0(VALU_DEP_1) | instskip(SKIP_1) | instid1(VALU_DEP_2)
	v_add_co_u32 v49, vcc_lo, s2, v49
	s_wait_alu 0xfffd
	v_add_co_ci_u32_e32 v50, vcc_lo, s3, v50, vcc_lo
	global_load_b128 v[53:56], v[49:50], off
.LBB0_31:
	s_wait_alu 0xfffe
	s_or_b32 exec_lo, exec_lo, s5
	v_mov_b32_e32 v49, v51
	v_dual_mov_b32 v50, v52 :: v_dual_add_nc_u32 v75, 28, v66
	s_and_saveexec_b32 s5, s1
	s_cbranch_execz .LBB0_33
; %bb.32:
	s_delay_alu instid0(VALU_DEP_1) | instskip(SKIP_1) | instid1(VALU_DEP_2)
	v_mul_lo_u32 v49, s0, v75
	v_mov_b32_e32 v50, 0
	v_add3_u32 v49, s4, v65, v49
	s_delay_alu instid0(VALU_DEP_1) | instskip(NEXT) | instid1(VALU_DEP_1)
	v_lshlrev_b64_e32 v[49:50], 4, v[49:50]
	v_add_co_u32 v49, vcc_lo, s2, v49
	s_wait_alu 0xfffd
	s_delay_alu instid0(VALU_DEP_2)
	v_add_co_ci_u32_e32 v50, vcc_lo, s3, v50, vcc_lo
	global_load_b128 v[49:52], v[49:50], off
.LBB0_33:
	s_wait_alu 0xfffe
	s_or_b32 exec_lo, exec_lo, s5
	v_mov_b32_e32 v59, 0
	v_mov_b32_e32 v60, 0
	s_delay_alu instid0(VALU_DEP_1)
	v_dual_mov_b32 v64, v60 :: v_dual_mov_b32 v63, v59
	v_dual_mov_b32 v62, v60 :: v_dual_mov_b32 v61, v59
	s_and_saveexec_b32 s5, s1
	s_cbranch_execz .LBB0_35
; %bb.34:
	v_dual_mov_b32 v58, 0 :: v_dual_add_nc_u32 v57, 44, v66
	s_delay_alu instid0(VALU_DEP_1) | instskip(NEXT) | instid1(VALU_DEP_1)
	v_mul_lo_u32 v57, s0, v57
	v_add3_u32 v57, s4, v65, v57
	s_delay_alu instid0(VALU_DEP_1) | instskip(NEXT) | instid1(VALU_DEP_1)
	v_lshlrev_b64_e32 v[57:58], 4, v[57:58]
	v_add_co_u32 v57, vcc_lo, s2, v57
	s_wait_alu 0xfffd
	s_delay_alu instid0(VALU_DEP_2)
	v_add_co_ci_u32_e32 v58, vcc_lo, s3, v58, vcc_lo
	global_load_b128 v[61:64], v[57:58], off
.LBB0_35:
	s_wait_alu 0xfffe
	s_or_b32 exec_lo, exec_lo, s5
	v_dual_mov_b32 v57, v59 :: v_dual_mov_b32 v58, v60
	s_and_saveexec_b32 s5, s1
	s_cbranch_execz .LBB0_37
; %bb.36:
	v_dual_mov_b32 v58, 0 :: v_dual_add_nc_u32 v57, 60, v66
	s_delay_alu instid0(VALU_DEP_1) | instskip(NEXT) | instid1(VALU_DEP_1)
	v_mul_lo_u32 v57, s0, v57
	v_add3_u32 v57, s4, v65, v57
	s_delay_alu instid0(VALU_DEP_1) | instskip(NEXT) | instid1(VALU_DEP_1)
	v_lshlrev_b64_e32 v[57:58], 4, v[57:58]
	v_add_co_u32 v57, vcc_lo, s2, v57
	s_wait_alu 0xfffd
	s_delay_alu instid0(VALU_DEP_2)
	v_add_co_ci_u32_e32 v58, vcc_lo, s3, v58, vcc_lo
	global_load_b128 v[57:60], v[57:58], off
.LBB0_37:
	s_wait_alu 0xfffe
	s_or_b32 exec_lo, exec_lo, s5
	s_wait_loadcnt 0x0
	v_add_f64_e64 v[45:46], v[37:38], -v[45:46]
	v_add_f64_e64 v[41:42], v[33:34], -v[41:42]
	;; [unrolled: 1-line block ×16, first 2 shown]
	v_fma_f64 v[37:38], v[37:38], 2.0, -v[45:46]
	v_fma_f64 v[33:34], v[33:34], 2.0, -v[41:42]
	;; [unrolled: 1-line block ×16, first 2 shown]
	v_add_f64_e32 v[11:12], v[13:14], v[11:12]
	v_add_f64_e32 v[43:44], v[45:46], v[43:44]
	v_add_f64_e64 v[82:83], v[15:16], -v[9:10]
	v_add_f64_e32 v[27:28], v[29:30], v[27:28]
	v_add_f64_e64 v[86:87], v[31:32], -v[25:26]
	;; [unrolled: 2-line block ×3, first 2 shown]
	v_add_f64_e64 v[57:58], v[63:64], -v[57:58]
	v_mul_u32_u24_e32 v47, 3, v66
	s_delay_alu instid0(VALU_DEP_1)
	v_lshlrev_b32_e32 v47, 4, v47
	v_add_f64_e64 v[33:34], v[37:38], -v[33:34]
	v_add_f64_e64 v[84:85], v[7:8], -v[3:4]
	;; [unrolled: 1-line block ×5, first 2 shown]
	v_lshlrev_b32_e32 v1, 3, v72
	v_add_f64_e64 v[35:36], v[39:40], -v[35:36]
	v_add_f64_e64 v[17:18], v[21:22], -v[17:18]
	;; [unrolled: 1-line block ×3, first 2 shown]
	v_fma_f64 v[2:3], v[13:14], 2.0, -v[11:12]
	v_fma_f64 v[13:14], v[45:46], 2.0, -v[43:44]
	v_lshlrev_b32_e32 v45, 9, v70
	v_lshlrev_b32_e32 v46, 7, v71
	v_fma_f64 v[9:10], v[29:30], 2.0, -v[27:28]
	v_fma_f64 v[31:32], v[31:32], 2.0, -v[86:87]
	v_fma_f64 v[19:20], v[61:62], 2.0, -v[59:60]
	v_add3_u32 v100, 0, v45, v1
	v_add3_u32 v48, 0, v46, v1
	v_fma_f64 v[61:62], v[76:77], 2.0, -v[41:42]
	v_fma_f64 v[63:64], v[63:64], 2.0, -v[57:58]
	s_delay_alu instid0(VALU_DEP_4)
	v_mad_i32_i24 v51, 0xfffffe80, v70, v100
	v_fma_f64 v[25:26], v[37:38], 2.0, -v[33:34]
	v_lshlrev_b32_e32 v37, 9, v68
	v_lshlrev_b32_e32 v38, 9, v69
	v_fma_f64 v[45:46], v[7:8], 2.0, -v[84:85]
	v_fma_f64 v[29:30], v[53:54], 2.0, -v[80:81]
	s_delay_alu instid0(VALU_DEP_4) | instskip(NEXT) | instid1(VALU_DEP_4)
	v_add3_u32 v98, 0, v37, v1
	v_add3_u32 v99, 0, v38, v1
	v_fma_f64 v[37:38], v[15:16], 2.0, -v[82:83]
	v_fma_f64 v[53:54], v[23:24], 2.0, -v[88:89]
	;; [unrolled: 1-line block ×5, first 2 shown]
	v_lshlrev_b32_e32 v6, 9, v66
	v_fma_f64 v[55:56], v[55:56], 2.0, -v[90:91]
	v_mad_i32_i24 v50, 0xfffffe80, v68, v98
	v_mad_i32_i24 v49, 0xfffffe80, v69, v99
	s_delay_alu instid0(VALU_DEP_4)
	v_add3_u32 v72, 0, v6, v1
	ds_store_2addr_b64 v72, v[78:79], v[11:12] offset0:32 offset1:48
	ds_store_2addr_b64 v98, v[17:18], v[27:28] offset0:32 offset1:48
	;; [unrolled: 1-line block ×4, first 2 shown]
	ds_store_2addr_b64 v72, v[4:5], v[2:3] offset1:16
	ds_store_2addr_b64 v98, v[21:22], v[9:10] offset1:16
	;; [unrolled: 1-line block ×4, first 2 shown]
	v_mad_i32_i24 v52, 0xfffffe80, v66, v72
	global_wb scope:SCOPE_SE
	s_wait_dscnt 0x0
	s_barrier_signal -1
	s_barrier_wait -1
	global_inv scope:SCOPE_SE
	ds_load_2addr_stride64_b64 v[2:5], v52 offset1:5
	ds_load_2addr_stride64_b64 v[6:9], v52 offset0:8 offset1:9
	ds_load_2addr_stride64_b64 v[10:13], v52 offset0:6 offset1:7
	;; [unrolled: 1-line block ×5, first 2 shown]
	ds_load_b64 v[80:81], v48
	ds_load_b64 v[92:93], v50
	;; [unrolled: 1-line block ×4, first 2 shown]
	global_wb scope:SCOPE_SE
	s_wait_dscnt 0x0
	s_barrier_signal -1
	s_barrier_wait -1
	global_inv scope:SCOPE_SE
	ds_store_2addr_b64 v72, v[45:46], v[37:38] offset1:16
	ds_store_2addr_b64 v72, v[84:85], v[82:83] offset0:32 offset1:48
	ds_store_2addr_b64 v98, v[53:54], v[31:32] offset1:16
	ds_store_2addr_b64 v98, v[88:89], v[86:87] offset0:32 offset1:48
	;; [unrolled: 2-line block ×4, first 2 shown]
	global_wb scope:SCOPE_SE
	s_wait_dscnt 0x0
	s_barrier_signal -1
	s_barrier_wait -1
	global_inv scope:SCOPE_SE
	s_clause 0x2
	global_load_b128 v[26:29], v47, s[8:9] offset:16
	global_load_b128 v[30:33], v47, s[8:9]
	global_load_b128 v[34:37], v47, s[8:9] offset:32
	ds_load_2addr_stride64_b64 v[38:41], v52 offset0:8 offset1:9
	ds_load_2addr_stride64_b64 v[42:45], v52 offset0:10 offset1:11
	ds_load_b64 v[46:47], v48
	ds_load_2addr_stride64_b64 v[53:56], v52 offset0:12 offset1:13
	ds_load_2addr_stride64_b64 v[57:60], v52 offset1:5
	ds_load_2addr_stride64_b64 v[61:64], v52 offset0:6 offset1:7
	ds_load_2addr_stride64_b64 v[76:79], v52 offset0:14 offset1:15
	ds_load_b64 v[82:83], v50
	ds_load_b64 v[84:85], v49
	;; [unrolled: 1-line block ×3, first 2 shown]
	v_lshlrev_b32_e32 v72, 2, v70
	global_wb scope:SCOPE_SE
	s_wait_loadcnt_dscnt 0x0
	s_barrier_signal -1
	s_barrier_wait -1
	global_inv scope:SCOPE_SE
	v_and_or_b32 v72, 0x1f0, v72, v66
	s_delay_alu instid0(VALU_DEP_1) | instskip(NEXT) | instid1(VALU_DEP_1)
	v_lshlrev_b32_e32 v72, 7, v72
	v_add3_u32 v72, 0, v72, v1
	v_mul_f64_e32 v[98:99], v[42:43], v[28:29]
	v_mul_f64_e32 v[100:101], v[44:45], v[28:29]
	;; [unrolled: 1-line block ×24, first 2 shown]
	v_fma_f64 v[18:19], v[18:19], v[26:27], v[98:99]
	v_fma_f64 v[20:21], v[20:21], v[26:27], v[100:101]
	;; [unrolled: 1-line block ×10, first 2 shown]
	v_fma_f64 v[38:39], v[38:39], v[26:27], -v[118:119]
	v_fma_f64 v[40:41], v[40:41], v[26:27], -v[120:121]
	;; [unrolled: 1-line block ×6, first 2 shown]
	v_fma_f64 v[4:5], v[4:5], v[30:31], v[106:107]
	v_fma_f64 v[16:17], v[16:17], v[34:35], v[108:109]
	v_fma_f64 v[53:54], v[61:62], v[30:31], -v[124:125]
	v_and_b32_e32 v120, 15, v73
	v_fma_f64 v[32:33], v[59:60], v[30:31], -v[32:33]
	v_fma_f64 v[46:47], v[55:56], v[34:35], -v[132:133]
	;; [unrolled: 1-line block ×5, first 2 shown]
	v_lshlrev_b32_e32 v64, 2, v69
	v_and_b32_e32 v121, 15, v74
	v_and_b32_e32 v61, 48, v0
	;; [unrolled: 1-line block ×3, first 2 shown]
	v_lshlrev_b32_e32 v90, 7, v73
	v_and_or_b32 v64, 0x1f0, v64, v66
	v_lshlrev_b32_e32 v91, 7, v74
	v_lshlrev_b32_e32 v100, 4, v120
	;; [unrolled: 1-line block ×5, first 2 shown]
	v_and_b32_e32 v122, 15, v69
	v_and_b32_e32 v123, 15, v70
	v_add_f64_e64 v[18:19], v[94:95], -v[18:19]
	v_add_f64_e64 v[20:21], v[96:97], -v[20:21]
	v_add3_u32 v64, 0, v64, v1
	v_add_f64_e64 v[22:23], v[10:11], -v[22:23]
	v_add_f64_e64 v[24:25], v[12:13], -v[24:25]
	;; [unrolled: 1-line block ×14, first 2 shown]
	v_fma_f64 v[62:63], v[94:95], 2.0, -v[18:19]
	v_fma_f64 v[76:77], v[96:97], 2.0, -v[20:21]
	;; [unrolled: 1-line block ×6, first 2 shown]
	v_lshlrev_b32_e32 v92, 7, v75
	v_fma_f64 v[55:56], v[80:81], 2.0, -v[14:15]
	v_fma_f64 v[78:79], v[57:58], 2.0, -v[36:37]
	;; [unrolled: 1-line block ×5, first 2 shown]
	v_add_f64_e64 v[86:87], v[36:37], -v[14:15]
	v_fma_f64 v[28:29], v[28:29], 2.0, -v[38:39]
	v_add_f64_e32 v[38:39], v[6:7], v[38:39]
	v_fma_f64 v[4:5], v[4:5], 2.0, -v[16:17]
	v_add_f64_e64 v[88:89], v[40:41], -v[16:17]
	v_add_f64_e64 v[22:23], v[42:43], -v[22:23]
	;; [unrolled: 1-line block ×3, first 2 shown]
	v_fma_f64 v[32:33], v[32:33], 2.0, -v[44:45]
	v_fma_f64 v[53:54], v[53:54], 2.0, -v[46:47]
	v_add_f64_e32 v[46:47], v[18:19], v[46:47]
	v_fma_f64 v[30:31], v[30:31], 2.0, -v[34:35]
	v_add_f64_e32 v[44:45], v[8:9], v[44:45]
	v_add_f64_e32 v[34:35], v[20:21], v[34:35]
	v_lshlrev_b32_e32 v58, 2, v68
	v_lshlrev_b32_e32 v57, 2, v66
	s_delay_alu instid0(VALU_DEP_1) | instskip(NEXT) | instid1(VALU_DEP_1)
	v_and_or_b32 v57, 0xf0, v57, v66
	v_lshlrev_b32_e32 v57, 7, v57
	v_add_f64_e64 v[10:11], v[62:63], -v[10:11]
	v_add_f64_e64 v[12:13], v[76:77], -v[12:13]
	s_delay_alu instid0(VALU_DEP_3)
	v_add3_u32 v57, 0, v57, v1
	v_add_f64_e64 v[55:56], v[2:3], -v[55:56]
	v_fma_f64 v[36:37], v[36:37], 2.0, -v[86:87]
	v_add_f64_e64 v[28:29], v[78:79], -v[28:29]
	v_fma_f64 v[6:7], v[6:7], 2.0, -v[38:39]
	;; [unrolled: 2-line block ×3, first 2 shown]
	v_fma_f64 v[42:43], v[42:43], 2.0, -v[22:23]
	v_fma_f64 v[26:27], v[26:27], 2.0, -v[24:25]
	v_add_f64_e64 v[32:33], v[80:81], -v[32:33]
	v_add_f64_e64 v[53:54], v[82:83], -v[53:54]
	v_fma_f64 v[16:17], v[18:19], 2.0, -v[46:47]
	v_add_f64_e64 v[30:31], v[84:85], -v[30:31]
	v_fma_f64 v[8:9], v[8:9], 2.0, -v[44:45]
	v_fma_f64 v[20:21], v[20:21], 2.0, -v[34:35]
	;; [unrolled: 1-line block ×4, first 2 shown]
	v_and_or_b32 v76, 0x1f0, v58, v66
	v_add3_u32 v58, 0, v90, v1
	v_fma_f64 v[2:3], v[2:3], 2.0, -v[55:56]
	s_delay_alu instid0(VALU_DEP_3) | instskip(NEXT) | instid1(VALU_DEP_1)
	v_lshlrev_b32_e32 v76, 7, v76
	v_add3_u32 v103, 0, v76, v1
	v_fma_f64 v[76:77], v[78:79], 2.0, -v[28:29]
	v_fma_f64 v[14:15], v[59:60], 2.0, -v[4:5]
	v_add3_u32 v59, 0, v91, v1
	v_add3_u32 v60, 0, v92, v1
	v_fma_f64 v[78:79], v[80:81], 2.0, -v[32:33]
	v_fma_f64 v[80:81], v[82:83], 2.0, -v[53:54]
	ds_store_2addr_stride64_b64 v57, v[2:3], v[6:7] offset1:1
	ds_store_2addr_stride64_b64 v57, v[55:56], v[38:39] offset0:2 offset1:3
	ds_store_2addr_stride64_b64 v103, v[14:15], v[8:9] offset1:1
	ds_store_2addr_stride64_b64 v103, v[4:5], v[44:45] offset0:2 offset1:3
	;; [unrolled: 2-line block ×4, first 2 shown]
	v_fma_f64 v[82:83], v[84:85], 2.0, -v[30:31]
	global_wb scope:SCOPE_SE
	s_wait_dscnt 0x0
	s_barrier_signal -1
	s_barrier_wait -1
	global_inv scope:SCOPE_SE
	ds_load_2addr_stride64_b64 v[2:5], v52 offset1:8
	ds_load_b64 v[46:47], v51
	ds_load_2addr_stride64_b64 v[6:9], v52 offset0:9 offset1:10
	ds_load_2addr_stride64_b64 v[10:13], v52 offset0:11 offset1:12
	ds_load_b64 v[84:85], v49
	ds_load_b64 v[90:91], v50
	;; [unrolled: 1-line block ×6, first 2 shown]
	ds_load_2addr_stride64_b64 v[14:17], v52 offset0:13 offset1:14
	ds_load_b64 v[62:63], v52 offset:7680
	global_wb scope:SCOPE_SE
	s_wait_dscnt 0x0
	s_barrier_signal -1
	s_barrier_wait -1
	global_inv scope:SCOPE_SE
	ds_store_2addr_stride64_b64 v57, v[76:77], v[36:37] offset1:1
	ds_store_2addr_stride64_b64 v57, v[28:29], v[86:87] offset0:2 offset1:3
	ds_store_2addr_stride64_b64 v103, v[78:79], v[40:41] offset1:1
	ds_store_2addr_stride64_b64 v103, v[32:33], v[88:89] offset0:2 offset1:3
	;; [unrolled: 2-line block ×4, first 2 shown]
	global_wb scope:SCOPE_SE
	s_wait_dscnt 0x0
	s_barrier_signal -1
	s_barrier_wait -1
	global_inv scope:SCOPE_SE
	s_clause 0x6
	global_load_b128 v[18:21], v61, s[8:9] offset:192
	global_load_b128 v[22:25], v100, s[8:9] offset:192
	;; [unrolled: 1-line block ×4, first 2 shown]
	global_load_b64 v[76:77], v100, s[8:9] offset:200
	global_load_b64 v[78:79], v101, s[8:9] offset:200
	;; [unrolled: 1-line block ×3, first 2 shown]
	v_and_b32_e32 v57, 15, v68
	v_lshlrev_b32_e32 v35, 4, v122
	v_lshlrev_b32_e32 v36, 4, v123
	;; [unrolled: 1-line block ×5, first 2 shown]
	s_clause 0x2
	global_load_b64 v[82:83], v34, s[8:9] offset:192
	global_load_b64 v[86:87], v35, s[8:9] offset:192
	;; [unrolled: 1-line block ×3, first 2 shown]
	ds_load_2addr_stride64_b64 v[34:37], v52 offset1:8
	ds_load_2addr_stride64_b64 v[38:41], v52 offset0:9 offset1:10
	ds_load_2addr_stride64_b64 v[42:45], v52 offset0:11 offset1:12
	;; [unrolled: 1-line block ×3, first 2 shown]
	ds_load_b64 v[100:101], v52 offset:7680
	v_and_or_b32 v57, 0xe0, v72, v57
	s_delay_alu instid0(VALU_DEP_1) | instskip(NEXT) | instid1(VALU_DEP_1)
	v_lshlrev_b32_e32 v57, 7, v57
	v_add3_u32 v57, 0, v57, v1
	s_wait_loadcnt_dscnt 0x904
	v_mul_f64_e32 v[102:103], v[36:37], v[20:21]
	s_wait_loadcnt_dscnt 0x803
	v_mul_f64_e32 v[104:105], v[38:39], v[24:25]
	s_wait_loadcnt 0x7
	v_mul_f64_e32 v[106:107], v[40:41], v[28:29]
	s_wait_loadcnt_dscnt 0x602
	v_mul_f64_e32 v[108:109], v[42:43], v[32:33]
	v_mul_f64_e32 v[110:111], v[44:45], v[20:21]
	s_wait_loadcnt_dscnt 0x501
	v_mul_f64_e32 v[112:113], v[53:54], v[76:77]
	s_wait_loadcnt 0x4
	v_mul_f64_e32 v[114:115], v[55:56], v[78:79]
	s_wait_loadcnt_dscnt 0x300
	v_mul_f64_e32 v[116:117], v[100:101], v[80:81]
	v_mul_f64_e32 v[118:119], v[4:5], v[20:21]
	;; [unrolled: 1-line block ×9, first 2 shown]
	v_fma_f64 v[4:5], v[4:5], v[18:19], v[102:103]
	s_wait_loadcnt 0x2
	v_fma_f64 v[6:7], v[6:7], v[82:83], v[104:105]
	s_wait_loadcnt 0x1
	;; [unrolled: 2-line block ×3, first 2 shown]
	v_fma_f64 v[10:11], v[10:11], v[88:89], v[108:109]
	v_fma_f64 v[12:13], v[12:13], v[18:19], v[110:111]
	;; [unrolled: 1-line block ×5, first 2 shown]
	v_fma_f64 v[36:37], v[36:37], v[18:19], -v[118:119]
	v_fma_f64 v[24:25], v[38:39], v[82:83], -v[24:25]
	;; [unrolled: 1-line block ×8, first 2 shown]
	ds_load_b64 v[38:39], v51
	ds_load_b64 v[40:41], v49
	;; [unrolled: 1-line block ×7, first 2 shown]
	v_lshlrev_b32_e32 v56, 1, v71
	v_lshlrev_b32_e32 v55, 1, v73
	;; [unrolled: 1-line block ×3, first 2 shown]
	v_and_or_b32 v100, 0xe0, v64, v122
	v_lshlrev_b32_e32 v53, 1, v75
	global_wb scope:SCOPE_SE
	s_wait_dscnt 0x0
	v_and_or_b32 v102, 0xe0, v55, v120
	v_and_or_b32 v103, 0xe0, v54, v121
	s_barrier_signal -1
	v_and_or_b32 v0, 0xe0, v53, v0
	s_barrier_wait -1
	global_inv scope:SCOPE_SE
	v_lshlrev_b32_e32 v0, 7, v0
	s_delay_alu instid0(VALU_DEP_1)
	v_add3_u32 v109, 0, v0, v1
	v_add_f64_e64 v[4:5], v[2:3], -v[4:5]
	v_add_f64_e64 v[6:7], v[90:91], -v[6:7]
	;; [unrolled: 1-line block ×16, first 2 shown]
	v_lshlrev_b32_e32 v63, 1, v70
	v_lshlrev_b32_e32 v62, 1, v66
	s_delay_alu instid0(VALU_DEP_2) | instskip(NEXT) | instid1(VALU_DEP_2)
	v_and_or_b32 v101, 0xe0, v63, v123
	v_and_or_b32 v62, 0x60, v62, v66
	s_delay_alu instid0(VALU_DEP_1) | instskip(NEXT) | instid1(VALU_DEP_1)
	v_lshlrev_b32_e32 v62, 7, v62
	v_add3_u32 v62, 0, v62, v1
	v_fma_f64 v[2:3], v[2:3], 2.0, -v[4:5]
	v_fma_f64 v[32:33], v[90:91], 2.0, -v[6:7]
	;; [unrolled: 1-line block ×8, first 2 shown]
	v_and_or_b32 v94, 0xe0, v56, v66
	v_lshlrev_b32_e32 v95, 7, v100
	v_lshlrev_b32_e32 v96, 7, v101
	;; [unrolled: 1-line block ×5, first 2 shown]
	v_add3_u32 v104, 0, v95, v1
	v_add3_u32 v105, 0, v96, v1
	;; [unrolled: 1-line block ×3, first 2 shown]
	v_fma_f64 v[96:97], v[42:43], 2.0, -v[24:25]
	v_add3_u32 v106, 0, v94, v1
	v_fma_f64 v[94:95], v[34:35], 2.0, -v[82:83]
	v_add3_u32 v108, 0, v98, v1
	v_fma_f64 v[98:99], v[40:41], 2.0, -v[28:29]
	v_fma_f64 v[100:101], v[38:39], 2.0, -v[86:87]
	;; [unrolled: 1-line block ×6, first 2 shown]
	ds_store_2addr_stride64_b64 v62, v[2:3], v[4:5] offset1:4
	ds_store_2addr_stride64_b64 v57, v[32:33], v[6:7] offset1:4
	;; [unrolled: 1-line block ×8, first 2 shown]
	global_wb scope:SCOPE_SE
	s_wait_dscnt 0x0
	s_barrier_signal -1
	s_barrier_wait -1
	global_inv scope:SCOPE_SE
	ds_load_2addr_stride64_b64 v[0:3], v52 offset1:8
	ds_load_b64 v[40:41], v51
	ds_load_b64 v[42:43], v49
	;; [unrolled: 1-line block ×7, first 2 shown]
	ds_load_2addr_stride64_b64 v[12:15], v52 offset0:13 offset1:14
	ds_load_b64 v[46:47], v52 offset:7680
	ds_load_2addr_stride64_b64 v[4:7], v52 offset0:9 offset1:10
	ds_load_2addr_stride64_b64 v[8:11], v52 offset0:11 offset1:12
	global_wb scope:SCOPE_SE
	s_wait_dscnt 0x0
	s_barrier_signal -1
	s_barrier_wait -1
	global_inv scope:SCOPE_SE
	ds_store_2addr_stride64_b64 v62, v[94:95], v[82:83] offset1:4
	ds_store_2addr_stride64_b64 v57, v[96:97], v[24:25] offset1:4
	;; [unrolled: 1-line block ×8, first 2 shown]
	global_wb scope:SCOPE_SE
	s_wait_dscnt 0x0
	s_barrier_signal -1
	s_barrier_wait -1
	global_inv scope:SCOPE_SE
	s_and_saveexec_b32 s5, s1
	s_cbranch_execz .LBB0_39
; %bb.38:
	v_and_b32_e32 v57, 31, v75
	v_and_b32_e32 v62, 31, v74
	;; [unrolled: 1-line block ×3, first 2 shown]
	s_add_co_i32 s1, 0, 0x2000
	v_and_b32_e32 v71, 31, v71
	v_mul_lo_u32 v75, v57, v67
	v_mul_lo_u32 v74, v62, v67
	v_or_b32_e32 v16, 32, v57
	v_or_b32_e32 v17, 32, v62
	;; [unrolled: 1-line block ×3, first 2 shown]
	v_mul_lo_u32 v77, v73, v67
	v_mul_lo_u32 v152, v71, v67
	v_mul_lo_u32 v79, v16, v67
	v_lshrrev_b32_e32 v19, 2, v75
	v_lshrrev_b32_e32 v16, 2, v74
	v_mul_lo_u32 v78, v17, v67
	v_and_b32_e32 v17, 63, v75
	v_and_b32_e32 v20, 63, v74
	;; [unrolled: 1-line block ×4, first 2 shown]
	v_mul_lo_u32 v76, v18, v67
	v_lshl_add_u32 v17, v17, 4, 0
	v_lshrrev_b32_e32 v80, 2, v79
	s_wait_alu 0xfffe
	v_add_nc_u32_e32 v18, s1, v19
	v_lshl_add_u32 v19, v20, 4, 0
	v_add_nc_u32_e32 v20, s1, v16
	v_and_b32_e32 v81, 63, v79
	ds_load_b128 v[24:27], v17 offset:8192
	ds_load_b128 v[28:31], v18 offset:1024
	ds_load_b128 v[16:19], v19 offset:8192
	ds_load_b128 v[20:23], v20 offset:1024
	v_and_b32_e32 v80, 0x3f0, v80
	v_lshrrev_b32_e32 v75, 8, v75
	v_lshrrev_b32_e32 v82, 2, v78
	v_and_b32_e32 v83, 63, v78
	v_lshrrev_b32_e32 v84, 2, v76
	v_lshrrev_b32_e32 v92, 8, v79
	v_lshl_add_u32 v79, v81, 4, 0
	v_add_nc_u32_e32 v85, s1, v80
	v_and_b32_e32 v87, 0x3f0, v82
	v_lshl_add_u32 v88, v83, 4, 0
	v_and_b32_e32 v93, 0x3f0, v84
	ds_load_b128 v[79:82], v79 offset:8192
	ds_load_b128 v[83:86], v85 offset:1024
	v_and_b32_e32 v91, 63, v76
	v_and_b32_e32 v100, 63, v77
	v_add_nc_u32_e32 v115, s1, v87
	ds_load_b128 v[87:90], v88 offset:8192
	v_add_nc_u32_e32 v103, s1, v93
	s_wait_dscnt 0x5
	v_mul_f64_e32 v[139:140], v[26:27], v[30:31]
	v_mul_f64_e32 v[141:142], v[24:25], v[30:31]
	v_and_b32_e32 v31, 0x3f0, v75
	v_lshrrev_b32_e32 v30, 2, v77
	v_and_b32_e32 v75, 0x3f0, v92
	v_or_b32_e32 v92, 32, v71
	v_lshl_add_u32 v99, v91, 4, 0
	v_add_nc_u32_e32 v31, s1, v31
	v_and_b32_e32 v30, 0x3f0, v30
	v_add_nc_u32_e32 v75, s1, v75
	v_mul_lo_u32 v151, v92, v67
	ds_load_b128 v[91:94], v31 offset:2048
	ds_load_b128 v[95:98], v75 offset:2048
	v_lshl_add_u32 v31, v100, 4, 0
	v_add_nc_u32_e32 v30, s1, v30
	ds_load_b128 v[99:102], v99 offset:8192
	ds_load_b128 v[103:106], v103 offset:1024
	ds_load_b128 v[107:110], v31 offset:8192
	ds_load_b128 v[111:114], v30 offset:1024
	ds_load_b128 v[115:118], v115 offset:1024
	s_wait_dscnt 0xa
	v_mul_f64_e32 v[143:144], v[18:19], v[22:23]
	v_mul_f64_e32 v[22:23], v[16:17], v[22:23]
	v_lshrrev_b32_e32 v31, 8, v74
	s_wait_dscnt 0x8
	v_mul_f64_e32 v[145:146], v[81:82], v[85:86]
	v_mul_f64_e32 v[85:86], v[79:80], v[85:86]
	v_lshrrev_b32_e32 v75, 2, v151
	v_lshrrev_b32_e32 v74, 8, v78
	v_and_b32_e32 v31, 0x3f0, v31
	v_lshrrev_b32_e32 v119, 8, v77
	v_lshrrev_b32_e32 v120, 8, v76
	v_and_b32_e32 v75, 0x3f0, v75
	v_and_b32_e32 v74, 0x3f0, v74
	v_add_nc_u32_e32 v31, s1, v31
	v_and_b32_e32 v30, 31, v70
	v_and_b32_e32 v70, 63, v151
	v_add_nc_u32_e32 v127, s1, v75
	v_add_nc_u32_e32 v121, s1, v74
	ds_load_b128 v[74:77], v31 offset:2048
	v_and_b32_e32 v31, 0x3f0, v119
	s_wait_dscnt 0x1
	v_mul_f64_e32 v[147:148], v[89:90], v[117:118]
	v_mul_f64_e32 v[117:118], v[87:88], v[117:118]
	v_and_b32_e32 v123, 0x3f0, v120
	v_lshrrev_b32_e32 v153, 2, v152
	v_lshl_add_u32 v70, v70, 4, 0
	v_fma_f64 v[139:140], v[24:25], v[28:29], -v[139:140]
	v_lshrrev_b32_e32 v24, 8, v152
	v_mul_f64_e32 v[149:150], v[101:102], v[105:106]
	v_lshrrev_b32_e32 v25, 8, v151
	v_or_b32_e32 v78, 32, v30
	v_add_nc_u32_e32 v31, s1, v31
	v_add_nc_u32_e32 v135, s1, v123
	v_and_b32_e32 v154, 63, v152
	ds_load_b128 v[119:122], v121 offset:2048
	ds_load_b128 v[123:126], v70 offset:8192
	;; [unrolled: 1-line block ×5, first 2 shown]
	v_and_b32_e32 v70, 0x3f0, v153
	v_and_b32_e32 v24, 0x3f0, v24
	;; [unrolled: 1-line block ×3, first 2 shown]
	v_mul_lo_u32 v31, v78, v67
	v_fma_f64 v[28:29], v[26:27], v[28:29], v[141:142]
	v_lshl_add_u32 v26, v154, 4, 0
	v_add_nc_u32_e32 v27, s1, v70
	v_add_nc_u32_e32 v24, s1, v24
	v_mul_f64_e32 v[105:106], v[99:100], v[105:106]
	v_mul_f64_e32 v[141:142], v[109:110], v[113:114]
	v_add_nc_u32_e32 v70, s1, v25
	v_fma_f64 v[143:144], v[16:17], v[20:21], -v[143:144]
	v_fma_f64 v[151:152], v[18:19], v[20:21], v[22:23]
	ds_load_b128 v[16:19], v26 offset:8192
	ds_load_b128 v[20:23], v27 offset:1024
	v_fma_f64 v[145:146], v[79:80], v[83:84], -v[145:146]
	v_fma_f64 v[153:154], v[81:82], v[83:84], v[85:86]
	ds_load_b128 v[24:27], v24 offset:2048
	ds_load_b128 v[78:81], v70 offset:2048
	v_lshrrev_b32_e32 v70, 2, v31
	v_mul_f64_e32 v[113:114], v[107:108], v[113:114]
	v_and_b32_e32 v82, 63, v31
	v_mul_lo_u32 v161, v30, v67
	v_lshrrev_b32_e32 v31, 8, v31
	v_and_b32_e32 v70, 0x3f0, v70
	v_fma_f64 v[147:148], v[87:88], v[115:116], -v[147:148]
	v_lshl_add_u32 v82, v82, 4, 0
	v_fma_f64 v[157:158], v[89:90], v[115:116], v[117:118]
	v_and_b32_e32 v31, 0x3f0, v31
	v_add_nc_u32_e32 v70, s1, v70
	ds_load_b128 v[82:85], v82 offset:8192
	ds_load_b128 v[86:89], v70 offset:1024
	v_lshrrev_b32_e32 v90, 2, v161
	s_wait_dscnt 0x4
	v_mul_f64_e32 v[115:116], v[18:19], v[22:23]
	v_mul_f64_e32 v[22:23], v[16:17], v[22:23]
	v_fma_f64 v[149:150], v[99:100], v[103:104], -v[149:150]
	v_and_b32_e32 v70, 63, v161
	v_lshrrev_b32_e32 v99, 8, v161
	v_and_b32_e32 v90, 0x3f0, v90
	v_mul_f64_e32 v[155:156], v[125:126], v[129:130]
	v_mul_f64_e32 v[129:130], v[123:124], v[129:130]
	v_lshl_add_u32 v70, v70, 4, 0
	v_and_b32_e32 v99, 0x3f0, v99
	v_add_nc_u32_e32 v90, s1, v90
	v_add_nc_u32_e32 v31, s1, v31
	v_and_b32_e32 v211, 31, v68
	v_fma_f64 v[159:160], v[101:102], v[103:104], v[105:106]
	v_fma_f64 v[141:142], v[107:108], v[111:112], -v[141:142]
	v_add_nc_u32_e32 v107, s1, v99
	ds_load_b128 v[99:102], v70 offset:8192
	ds_load_b128 v[103:106], v90 offset:1024
	v_or_b32_e32 v68, 32, v211
	s_wait_dscnt 0x2
	v_mul_f64_e32 v[117:118], v[84:85], v[88:89]
	v_mul_f64_e32 v[88:89], v[82:83], v[88:89]
	v_or_b32_e32 v212, 32, v66
	v_mul_lo_u32 v68, v68, v67
	v_fma_f64 v[161:162], v[109:110], v[111:112], v[113:114]
	ds_load_b128 v[107:110], v107 offset:2048
	ds_load_b128 v[111:114], v31 offset:2048
	v_and_b32_e32 v31, 31, v69
	s_delay_alu instid0(VALU_DEP_1) | instskip(NEXT) | instid1(VALU_DEP_1)
	v_or_b32_e32 v69, 32, v31
	v_mul_lo_u32 v90, v69, v67
	s_wait_dscnt 0x2
	v_mul_f64_e32 v[69:70], v[101:102], v[105:106]
	v_fma_f64 v[163:164], v[18:19], v[20:21], v[22:23]
	s_delay_alu instid0(VALU_DEP_3)
	v_lshrrev_b32_e32 v18, 2, v90
	v_and_b32_e32 v19, 63, v90
	v_fma_f64 v[155:156], v[123:124], v[127:128], -v[155:156]
	v_fma_f64 v[127:128], v[125:126], v[127:128], v[129:130]
	v_fma_f64 v[129:130], v[16:17], v[20:21], -v[115:116]
	v_and_b32_e32 v18, 0x3f0, v18
	v_lshl_add_u32 v19, v19, 4, 0
	v_mul_f64_e32 v[16:17], v[99:100], v[105:106]
	v_mul_lo_u32 v105, v31, v67
	s_delay_alu instid0(VALU_DEP_4)
	v_add_nc_u32_e32 v18, s1, v18
	ds_load_b128 v[20:23], v19 offset:8192
	v_fma_f64 v[165:166], v[82:83], v[86:87], -v[117:118]
	v_fma_f64 v[167:168], v[84:85], v[86:87], v[88:89]
	ds_load_b128 v[82:85], v18 offset:1024
	v_lshrrev_b32_e32 v18, 8, v105
	v_lshrrev_b32_e32 v19, 8, v90
	;; [unrolled: 1-line block ×3, first 2 shown]
	s_delay_alu instid0(VALU_DEP_3) | instskip(NEXT) | instid1(VALU_DEP_3)
	v_and_b32_e32 v18, 0x3f0, v18
	v_and_b32_e32 v19, 0x3f0, v19
	s_delay_alu instid0(VALU_DEP_3) | instskip(NEXT) | instid1(VALU_DEP_3)
	v_and_b32_e32 v90, 0x3f0, v90
	v_add_nc_u32_e32 v18, s1, v18
	s_delay_alu instid0(VALU_DEP_3) | instskip(NEXT) | instid1(VALU_DEP_3)
	v_add_nc_u32_e32 v19, s1, v19
	v_add_nc_u32_e32 v90, s1, v90
	v_fma_f64 v[169:170], v[99:100], v[103:104], -v[69:70]
	v_and_b32_e32 v99, 63, v105
	s_wait_dscnt 0x0
	v_mul_f64_e32 v[69:70], v[22:23], v[84:85]
	v_mul_f64_e32 v[84:85], v[20:21], v[84:85]
	s_delay_alu instid0(VALU_DEP_3)
	v_lshl_add_u32 v99, v99, 4, 0
	v_fma_f64 v[171:172], v[101:102], v[103:104], v[16:17]
	ds_load_b128 v[86:89], v18 offset:2048
	ds_load_b128 v[16:19], v19 offset:2048
	v_fma_f64 v[20:21], v[20:21], v[82:83], -v[69:70]
	v_fma_f64 v[22:23], v[22:23], v[82:83], v[84:85]
	ds_load_b128 v[82:85], v99 offset:8192
	ds_load_b128 v[99:102], v90 offset:1024
	s_wait_dscnt 0x0
	v_mul_f64_e32 v[69:70], v[84:85], v[101:102]
	v_mul_f64_e32 v[101:102], v[82:83], v[101:102]
	s_delay_alu instid0(VALU_DEP_2)
	v_fma_f64 v[173:174], v[82:83], v[99:100], -v[69:70]
	v_mul_lo_u32 v70, v211, v67
	v_lshrrev_b32_e32 v69, 2, v68
	v_and_b32_e32 v82, 63, v68
	v_lshrrev_b32_e32 v68, 8, v68
	v_fma_f64 v[175:176], v[84:85], v[99:100], v[101:102]
	s_delay_alu instid0(VALU_DEP_4) | instskip(NEXT) | instid1(VALU_DEP_4)
	v_and_b32_e32 v69, 0x3f0, v69
	v_lshl_add_u32 v82, v82, 4, 0
	v_lshrrev_b32_e32 v83, 8, v70
	v_and_b32_e32 v68, 0x3f0, v68
	s_delay_alu instid0(VALU_DEP_4) | instskip(NEXT) | instid1(VALU_DEP_3)
	v_add_nc_u32_e32 v69, s1, v69
	v_and_b32_e32 v90, 0x3f0, v83
	s_delay_alu instid0(VALU_DEP_3)
	v_add_nc_u32_e32 v68, s1, v68
	ds_load_b128 v[82:85], v82 offset:8192
	v_add_nc_u32_e32 v90, s1, v90
	ds_load_b128 v[99:102], v69 offset:1024
	ds_load_b128 v[103:106], v90 offset:2048
	;; [unrolled: 1-line block ×3, first 2 shown]
	v_mul_lo_u32 v90, v66, v67
	s_wait_dscnt 0x2
	v_mul_f64_e32 v[68:69], v[84:85], v[101:102]
	s_delay_alu instid0(VALU_DEP_1) | instskip(SKIP_1) | instid1(VALU_DEP_1)
	v_fma_f64 v[177:178], v[82:83], v[99:100], -v[68:69]
	v_mul_f64_e32 v[68:69], v[82:83], v[101:102]
	v_fma_f64 v[179:180], v[84:85], v[99:100], v[68:69]
	v_lshrrev_b32_e32 v68, 2, v70
	v_and_b32_e32 v69, 63, v70
	v_lshrrev_b32_e32 v70, 8, v90
	s_delay_alu instid0(VALU_DEP_3) | instskip(NEXT) | instid1(VALU_DEP_3)
	v_and_b32_e32 v68, 0x3f0, v68
	v_lshl_add_u32 v69, v69, 4, 0
	s_delay_alu instid0(VALU_DEP_3) | instskip(NEXT) | instid1(VALU_DEP_3)
	v_and_b32_e32 v70, 0x3f0, v70
	v_add_nc_u32_e32 v68, s1, v68
	ds_load_b128 v[82:85], v69 offset:8192
	ds_load_b128 v[99:102], v68 offset:1024
	v_add_nc_u32_e32 v123, s1, v70
	s_wait_dscnt 0x0
	v_mul_f64_e32 v[68:69], v[84:85], v[101:102]
	s_delay_alu instid0(VALU_DEP_1) | instskip(SKIP_1) | instid1(VALU_DEP_1)
	v_fma_f64 v[181:182], v[82:83], v[99:100], -v[68:69]
	v_mul_f64_e32 v[68:69], v[82:83], v[101:102]
	v_fma_f64 v[183:184], v[84:85], v[99:100], v[68:69]
	v_mul_lo_u32 v68, v212, v67
	s_delay_alu instid0(VALU_DEP_1) | instskip(SKIP_2) | instid1(VALU_DEP_3)
	v_lshrrev_b32_e32 v67, 2, v68
	v_lshrrev_b32_e32 v69, 8, v68
	v_and_b32_e32 v68, 63, v68
	v_and_b32_e32 v67, 0x3f0, v67
	s_delay_alu instid0(VALU_DEP_3) | instskip(NEXT) | instid1(VALU_DEP_3)
	v_and_b32_e32 v69, 0x3f0, v69
	v_lshl_add_u32 v82, v68, 4, 0
	s_delay_alu instid0(VALU_DEP_3) | instskip(NEXT) | instid1(VALU_DEP_3)
	v_add_nc_u32_e32 v67, s1, v67
	v_add_nc_u32_e32 v99, s1, v69
	ds_load_b128 v[67:70], v67 offset:1024
	ds_load_b128 v[82:85], v82 offset:8192
	;; [unrolled: 1-line block ×4, first 2 shown]
	s_wait_dscnt 0x2
	v_mul_f64_e32 v[185:186], v[84:85], v[69:70]
	v_mul_f64_e32 v[69:70], v[82:83], v[69:70]
	s_delay_alu instid0(VALU_DEP_2) | instskip(NEXT) | instid1(VALU_DEP_2)
	v_fma_f64 v[185:186], v[82:83], v[67:68], -v[185:186]
	v_fma_f64 v[187:188], v[84:85], v[67:68], v[69:70]
	v_lshrrev_b32_e32 v67, 2, v90
	v_and_b32_e32 v68, 63, v90
	s_delay_alu instid0(VALU_DEP_2) | instskip(NEXT) | instid1(VALU_DEP_2)
	v_and_b32_e32 v67, 0x3f0, v67
	v_lshl_add_u32 v68, v68, 4, 0
	s_delay_alu instid0(VALU_DEP_2) | instskip(SKIP_4) | instid1(VALU_DEP_1)
	v_add_nc_u32_e32 v82, s1, v67
	ds_load_b128 v[67:70], v68 offset:8192
	ds_load_b128 v[82:85], v82 offset:1024
	s_wait_dscnt 0x0
	v_mul_f64_e32 v[189:190], v[69:70], v[84:85]
	v_fma_f64 v[189:190], v[67:68], v[82:83], -v[189:190]
	v_mul_f64_e32 v[67:68], v[67:68], v[84:85]
	s_delay_alu instid0(VALU_DEP_1)
	v_fma_f64 v[191:192], v[82:83], v[69:70], v[67:68]
	v_lshlrev_b32_e32 v67, 4, v62
	global_load_b128 v[67:70], v67, s[8:9] offset:448
	ds_load_b64 v[195:196], v52 offset:7680
	ds_load_2addr_stride64_b64 v[82:85], v52 offset0:13 offset1:14
	s_wait_loadcnt 0x0
	v_mul_f64_e32 v[193:194], v[14:15], v[69:70]
	s_wait_dscnt 0x0
	v_mul_f64_e32 v[69:70], v[84:85], v[69:70]
	s_delay_alu instid0(VALU_DEP_2) | instskip(NEXT) | instid1(VALU_DEP_2)
	v_fma_f64 v[193:194], v[84:85], v[67:68], -v[193:194]
	v_fma_f64 v[197:198], v[14:15], v[67:68], v[69:70]
	v_lshlrev_b32_e32 v14, 4, v73
	global_load_b128 v[67:70], v14, s[8:9] offset:448
	s_wait_loadcnt 0x0
	v_mul_f64_e32 v[14:15], v[12:13], v[69:70]
	s_delay_alu instid0(VALU_DEP_1) | instskip(SKIP_1) | instid1(VALU_DEP_1)
	v_fma_f64 v[199:200], v[82:83], v[67:68], -v[14:15]
	v_mul_f64_e32 v[14:15], v[82:83], v[69:70]
	v_fma_f64 v[201:202], v[12:13], v[67:68], v[14:15]
	v_lshlrev_b32_e32 v12, 4, v71
	global_load_b128 v[12:15], v12, s[8:9] offset:448
	ds_load_2addr_stride64_b64 v[67:70], v52 offset0:11 offset1:12
	ds_load_2addr_stride64_b64 v[82:85], v52 offset0:9 offset1:10
	s_wait_loadcnt 0x0
	v_mul_f64_e32 v[203:204], v[10:11], v[14:15]
	s_wait_dscnt 0x1
	v_mul_f64_e32 v[14:15], v[69:70], v[14:15]
	s_delay_alu instid0(VALU_DEP_2) | instskip(NEXT) | instid1(VALU_DEP_2)
	v_fma_f64 v[203:204], v[69:70], v[12:13], -v[203:204]
	v_fma_f64 v[205:206], v[10:11], v[12:13], v[14:15]
	v_lshlrev_b32_e32 v10, 4, v30
	global_load_b128 v[10:13], v10, s[8:9] offset:448
	s_wait_loadcnt 0x0
	v_mul_f64_e32 v[14:15], v[8:9], v[12:13]
	v_mul_f64_e32 v[12:13], v[67:68], v[12:13]
	s_delay_alu instid0(VALU_DEP_2) | instskip(NEXT) | instid1(VALU_DEP_2)
	v_fma_f64 v[207:208], v[67:68], v[10:11], -v[14:15]
	v_fma_f64 v[209:210], v[8:9], v[10:11], v[12:13]
	v_mul_f64_e32 v[8:9], v[28:29], v[93:94]
	v_mul_f64_e32 v[10:11], v[139:140], v[93:94]
	;; [unrolled: 1-line block ×4, first 2 shown]
	v_lshlrev_b32_e32 v67, 4, v211
	global_load_b128 v[67:70], v67, s[8:9] offset:448
	v_fma_f64 v[8:9], v[91:92], v[139:140], -v[8:9]
	v_fma_f64 v[90:91], v[91:92], v[28:29], v[10:11]
	v_fma_f64 v[92:93], v[74:75], v[151:152], v[12:13]
	v_mul_f64_e32 v[12:13], v[161:162], v[133:134]
	v_mul_f64_e32 v[28:29], v[127:128], v[80:81]
	;; [unrolled: 1-line block ×3, first 2 shown]
	v_add_f64_e64 v[151:152], v[34:35], -v[201:202]
	s_delay_alu instid0(VALU_DEP_4)
	v_fma_f64 v[12:13], v[131:132], v[141:142], -v[12:13]
	v_fma_f64 v[131:132], v[131:132], v[161:162], v[14:15]
	v_mul_f64_e32 v[14:15], v[163:164], v[26:27]
	v_mul_f64_e32 v[26:27], v[129:130], v[26:27]
	v_fma_f64 v[10:11], v[74:75], v[143:144], -v[10:11]
	v_add_f64_e64 v[141:142], v[40:41], -v[209:210]
	s_delay_alu instid0(VALU_DEP_4) | instskip(NEXT) | instid1(VALU_DEP_4)
	v_fma_f64 v[14:15], v[24:25], v[129:130], -v[14:15]
	v_fma_f64 v[129:130], v[24:25], v[163:164], v[26:27]
	v_mul_f64_e32 v[24:25], v[171:172], v[109:110]
	s_delay_alu instid0(VALU_DEP_4) | instskip(NEXT) | instid1(VALU_DEP_2)
	v_fma_f64 v[40:41], v[40:41], 2.0, -v[141:142]
	v_fma_f64 v[133:134], v[107:108], v[169:170], -v[24:25]
	v_mul_f64_e32 v[24:25], v[169:170], v[109:110]
	s_delay_alu instid0(VALU_DEP_1) | instskip(SKIP_1) | instid1(VALU_DEP_1)
	v_fma_f64 v[107:108], v[107:108], v[171:172], v[24:25]
	v_mul_f64_e32 v[24:25], v[175:176], v[88:89]
	v_fma_f64 v[109:110], v[86:87], v[173:174], -v[24:25]
	v_mul_f64_e32 v[24:25], v[173:174], v[88:89]
	s_delay_alu instid0(VALU_DEP_1) | instskip(SKIP_1) | instid1(VALU_DEP_1)
	v_fma_f64 v[86:87], v[86:87], v[175:176], v[24:25]
	v_mul_f64_e32 v[24:25], v[183:184], v[105:106]
	;; [unrolled: 5-line block ×6, first 2 shown]
	v_fma_f64 v[121:122], v[135:136], v[149:150], -v[24:25]
	v_mul_f64_e32 v[24:25], v[149:150], v[137:138]
	v_fma_f64 v[137:138], v[78:79], v[155:156], -v[28:29]
	v_mul_f64_e32 v[28:29], v[155:156], v[80:81]
	v_add_f64_e64 v[155:156], v[32:33], -v[205:206]
	s_delay_alu instid0(VALU_DEP_4) | instskip(SKIP_1) | instid1(VALU_DEP_4)
	v_fma_f64 v[135:136], v[135:136], v[159:160], v[24:25]
	v_lshlrev_b32_e32 v24, 4, v31
	v_fma_f64 v[78:79], v[78:79], v[127:128], v[28:29]
	v_mul_f64_e32 v[28:29], v[167:168], v[113:114]
	v_fma_f64 v[173:174], v[32:33], 2.0, -v[155:156]
	global_load_b128 v[24:27], v24, s[8:9] offset:448
	v_fma_f64 v[80:81], v[111:112], v[165:166], -v[28:29]
	v_mul_f64_e32 v[28:29], v[165:166], v[113:114]
	s_delay_alu instid0(VALU_DEP_1)
	v_fma_f64 v[111:112], v[111:112], v[167:168], v[28:29]
	s_wait_loadcnt 0x0
	v_mul_f64_e32 v[74:75], v[6:7], v[26:27]
	s_wait_dscnt 0x0
	v_mul_f64_e32 v[76:77], v[84:85], v[26:27]
	global_load_b128 v[26:29], v61, s[8:9] offset:448
	v_fma_f64 v[84:85], v[84:85], v[24:25], -v[74:75]
	v_fma_f64 v[24:25], v[6:7], v[24:25], v[76:77]
	v_mul_f64_e32 v[6:7], v[4:5], v[69:70]
	s_delay_alu instid0(VALU_DEP_2) | instskip(NEXT) | instid1(VALU_DEP_2)
	v_add_f64_e64 v[139:140], v[42:43], -v[24:25]
	v_fma_f64 v[113:114], v[82:83], v[67:68], -v[6:7]
	v_mul_f64_e32 v[6:7], v[82:83], v[69:70]
	v_mul_f64_e32 v[82:83], v[177:178], v[117:118]
	;; [unrolled: 1-line block ×3, first 2 shown]
	v_fma_f64 v[42:43], v[42:43], 2.0, -v[139:140]
	s_delay_alu instid0(VALU_DEP_4) | instskip(SKIP_3) | instid1(VALU_DEP_1)
	v_fma_f64 v[67:68], v[4:5], v[67:68], v[6:7]
	ds_load_2addr_stride64_b64 v[4:7], v52 offset1:8
	v_fma_f64 v[24:25], v[115:116], v[177:178], -v[117:118]
	v_add_f64_e64 v[67:68], v[44:45], -v[67:68]
	v_fma_f64 v[44:45], v[44:45], 2.0, -v[67:68]
	s_wait_loadcnt 0x0
	v_mul_f64_e32 v[69:70], v[2:3], v[28:29]
	s_wait_dscnt 0x0
	v_mul_f64_e32 v[28:29], v[6:7], v[28:29]
	s_delay_alu instid0(VALU_DEP_2) | instskip(NEXT) | instid1(VALU_DEP_2)
	v_fma_f64 v[6:7], v[6:7], v[26:27], -v[69:70]
	v_fma_f64 v[2:3], v[2:3], v[26:27], v[28:29]
	v_mul_f64_e32 v[26:27], v[125:126], v[191:192]
	v_mul_f64_e32 v[28:29], v[125:126], v[189:190]
	s_delay_alu instid0(VALU_DEP_4) | instskip(NEXT) | instid1(VALU_DEP_4)
	v_add_f64_e64 v[6:7], v[4:5], -v[6:7]
	v_add_f64_e64 v[125:126], v[0:1], -v[2:3]
	v_add_nc_u32_e32 v2, s4, v65
	v_and_or_b32 v3, 0xc0, v72, v211
	v_fma_f64 v[26:27], v[123:124], v[189:190], -v[26:27]
	v_fma_f64 v[28:29], v[123:124], v[191:192], v[28:29]
	v_and_or_b32 v72, 0xc0, v63, v30
	s_delay_alu instid0(VALU_DEP_4)
	v_mad_co_u64_u32 v[127:128], null, s0, v66, v[2:3]
	v_dual_mov_b32 v128, 0 :: v_dual_lshlrev_b32 v61, 4, v57
	v_fma_f64 v[65:66], v[115:116], v[179:180], v[82:83]
	v_mad_co_u64_u32 v[82:83], null, s0, v3, v[2:3]
	v_or_b32_e32 v161, 32, v3
	global_load_b128 v[74:77], v61, s[8:9] offset:448
	ds_load_b64 v[51:52], v51
	ds_load_b64 v[123:124], v50
	;; [unrolled: 1-line block ×3, first 2 shown]
	v_mad_co_u64_u32 v[117:118], null, s0, v72, v[2:3]
	v_mov_b32_e32 v83, v128
	v_or_b32_e32 v72, 32, v72
	v_mov_b32_e32 v118, v128
	s_delay_alu instid0(VALU_DEP_3) | instskip(NEXT) | instid1(VALU_DEP_2)
	v_lshlrev_b64_e32 v[82:83], 4, v[82:83]
	v_lshlrev_b64_e32 v[117:118], 4, v[117:118]
	s_wait_dscnt 0x2
	v_add_f64_e64 v[143:144], v[51:52], -v[207:208]
	s_wait_dscnt 0x1
	v_add_f64_e64 v[113:114], v[123:124], -v[113:114]
	;; [unrolled: 2-line block ×3, first 2 shown]
	v_fma_f64 v[0:1], v[0:1], 2.0, -v[125:126]
	v_fma_f64 v[145:146], v[4:5], 2.0, -v[6:7]
	s_delay_alu instid0(VALU_DEP_4) | instskip(SKIP_3) | instid1(VALU_DEP_2)
	v_fma_f64 v[123:124], v[123:124], 2.0, -v[113:114]
	s_wait_loadcnt 0x0
	v_mul_f64_e32 v[69:70], v[46:47], v[76:77]
	v_mul_f64_e32 v[76:77], v[195:196], v[76:77]
	v_fma_f64 v[69:70], v[195:196], v[74:75], -v[69:70]
	s_delay_alu instid0(VALU_DEP_2)
	v_fma_f64 v[46:47], v[46:47], v[74:75], v[76:77]
	ds_load_b64 v[60:61], v60
	ds_load_b64 v[74:75], v59
	;; [unrolled: 1-line block ×4, first 2 shown]
	v_and_or_b32 v48, 0xc0, v64, v31
	v_mul_f64_e32 v[63:64], v[20:21], v[18:19]
	v_mul_f64_e32 v[18:19], v[22:23], v[18:19]
	v_mad_co_u64_u32 v[30:31], null, s0, v212, v[2:3]
	s_delay_alu instid0(VALU_DEP_4)
	v_mad_co_u64_u32 v[115:116], null, s0, v48, v[2:3]
	v_lshlrev_b64_e32 v[3:4], 4, v[127:128]
	v_or_b32_e32 v177, 32, v48
	v_mov_b32_e32 v31, v128
	v_fma_f64 v[48:49], v[49:50], 2.0, -v[84:85]
	v_fma_f64 v[50:51], v[51:52], 2.0, -v[143:144]
	v_mov_b32_e32 v116, v128
	v_add_co_u32 v159, vcc_lo, s2, v3
	s_wait_alu 0xfffd
	v_add_co_ci_u32_e32 v160, vcc_lo, s3, v4, vcc_lo
	s_wait_dscnt 0x2
	v_add_f64_e64 v[149:150], v[74:75], -v[193:194]
	s_wait_dscnt 0x1
	v_add_f64_e64 v[153:154], v[58:59], -v[199:200]
	;; [unrolled: 2-line block ×3, first 2 shown]
	v_lshlrev_b64_e32 v[30:31], 4, v[30:31]
	v_lshlrev_b64_e32 v[115:116], 4, v[115:116]
	s_delay_alu instid0(VALU_DEP_2)
	v_add_co_u32 v98, vcc_lo, s2, v30
	v_add_f64_e64 v[147:148], v[38:39], -v[46:47]
	v_add_f64_e64 v[46:47], v[60:61], -v[69:70]
	;; [unrolled: 1-line block ×3, first 2 shown]
	v_fma_f64 v[3:4], v[16:17], v[22:23], v[63:64]
	v_mul_f64_e32 v[63:64], v[6:7], v[99:100]
	v_mul_f64_e32 v[22:23], v[125:126], v[99:100]
	s_wait_alu 0xfffd
	v_add_co_ci_u32_e32 v99, vcc_lo, s3, v31, vcc_lo
	v_mul_f64_e32 v[30:31], v[67:68], v[65:66]
	v_mul_f64_e32 v[65:66], v[113:114], v[65:66]
	v_fma_f64 v[163:164], v[16:17], v[20:21], -v[18:19]
	v_mul_f64_e32 v[20:21], v[0:1], v[28:29]
	v_mul_f64_e32 v[28:29], v[145:146], v[28:29]
	v_add_co_u32 v82, vcc_lo, s2, v82
	s_wait_alu 0xfffd
	v_add_co_ci_u32_e32 v83, vcc_lo, s3, v83, vcc_lo
	v_add_co_u32 v115, vcc_lo, s2, v115
	v_fma_f64 v[74:75], v[74:75], 2.0, -v[149:150]
	v_fma_f64 v[171:172], v[58:59], 2.0, -v[153:154]
	;; [unrolled: 1-line block ×3, first 2 shown]
	v_mul_f64_e32 v[58:59], v[42:43], v[86:87]
	v_mul_f64_e32 v[76:77], v[50:51], v[107:108]
	s_wait_alu 0xfffd
	v_add_co_ci_u32_e32 v116, vcc_lo, s3, v116, vcc_lo
	v_fma_f64 v[165:166], v[38:39], 2.0, -v[147:148]
	v_fma_f64 v[167:168], v[60:61], 2.0, -v[46:47]
	;; [unrolled: 1-line block ×3, first 2 shown]
	v_mul_f64_e32 v[36:37], v[44:45], v[103:104]
	v_mul_f64_e32 v[38:39], v[123:124], v[103:104]
	v_fma_f64 v[103:104], v[34:35], 2.0, -v[151:152]
	v_mul_f64_e32 v[32:33], v[139:140], v[3:4]
	v_mul_f64_e32 v[34:35], v[84:85], v[3:4]
	;; [unrolled: 1-line block ×3, first 2 shown]
	v_mad_co_u64_u32 v[161:162], null, s0, v161, v[2:3]
	v_fma_f64 v[3:4], v[125:126], v[105:106], v[63:64]
	v_mul_f64_e32 v[63:64], v[40:41], v[107:108]
	v_fma_f64 v[16:17], v[67:68], v[24:25], v[65:66]
	v_mul_f64_e32 v[65:66], v[141:142], v[111:112]
	v_mul_f64_e32 v[67:68], v[143:144], v[111:112]
	v_fma_f64 v[5:6], v[6:7], v[105:106], -v[22:23]
	v_fma_f64 v[18:19], v[113:114], v[24:25], -v[30:31]
	v_mul_f64_e32 v[107:108], v[69:70], v[119:120]
	v_mul_f64_e32 v[111:112], v[149:150], v[119:120]
	v_fma_f64 v[22:23], v[145:146], v[26:27], -v[20:21]
	v_fma_f64 v[20:21], v[0:1], v[26:27], v[28:29]
	v_mul_f64_e32 v[0:1], v[151:152], v[135:136]
	v_mul_f64_e32 v[113:114], v[153:154], v[135:136]
	;; [unrolled: 1-line block ×6, first 2 shown]
	v_mov_b32_e32 v162, v128
	v_mul_f64_e32 v[105:106], v[147:148], v[94:95]
	v_mul_f64_e32 v[94:95], v[46:47], v[94:95]
	;; [unrolled: 1-line block ×4, first 2 shown]
	v_fma_f64 v[26:27], v[123:124], v[88:89], -v[36:37]
	v_fma_f64 v[24:25], v[44:45], v[88:89], v[38:39]
	v_mul_f64_e32 v[88:89], v[169:170], v[92:93]
	v_mul_f64_e32 v[92:93], v[74:75], v[92:93]
	;; [unrolled: 1-line block ×4, first 2 shown]
	v_fma_f64 v[30:31], v[84:85], v[163:164], -v[32:33]
	v_fma_f64 v[28:29], v[139:140], v[163:164], v[34:35]
	v_fma_f64 v[34:35], v[48:49], v[109:110], -v[58:59]
	v_fma_f64 v[32:33], v[42:43], v[109:110], v[60:61]
	;; [unrolled: 2-line block ×4, first 2 shown]
	v_mad_co_u64_u32 v[86:87], null, s0, v177, v[2:3]
	v_lshlrev_b64_e32 v[44:45], 4, v[161:162]
	v_mov_b32_e32 v87, v128
	v_mad_co_u64_u32 v[145:146], null, s0, v72, v[2:3]
	v_fma_f64 v[48:49], v[69:70], v[96:97], v[111:112]
	v_fma_f64 v[65:66], v[157:158], v[137:138], -v[119:120]
	v_add_co_u32 v84, vcc_lo, s2, v44
	v_lshlrev_b64_e32 v[86:87], 4, v[86:87]
	s_wait_alu 0xfffd
	v_add_co_ci_u32_e32 v85, vcc_lo, s3, v45, vcc_lo
	v_fma_f64 v[63:64], v[155:156], v[137:138], v[78:79]
	v_fma_f64 v[80:81], v[175:176], v[14:15], -v[135:136]
	v_fma_f64 v[78:79], v[173:174], v[14:15], v[129:130]
	s_clause 0x3
	global_store_b128 v[159:160], v[20:23], off
	global_store_b128 v[98:99], v[3:6], off
	global_store_b128 v[82:83], v[24:27], off
	global_store_b128 v[84:85], v[16:19], off
	v_and_or_b32 v3, 0xc0, v56, v71
	v_fma_f64 v[69:70], v[167:168], v[8:9], -v[125:126]
	v_fma_f64 v[67:68], v[165:166], v[8:9], v[90:91]
	v_fma_f64 v[76:77], v[74:75], v[10:11], -v[88:89]
	v_fma_f64 v[74:75], v[169:170], v[10:11], v[92:93]
	;; [unrolled: 2-line block ×3, first 2 shown]
	v_add_co_u32 v86, vcc_lo, s2, v86
	s_wait_alu 0xfffd
	v_add_co_ci_u32_e32 v87, vcc_lo, s3, v87, vcc_lo
	v_or_b32_e32 v5, 32, v3
	v_mad_co_u64_u32 v[3:4], null, s0, v3, v[2:3]
	v_fma_f64 v[60:61], v[153:154], v[121:122], -v[0:1]
	v_add_co_u32 v0, vcc_lo, s2, v117
	v_mov_b32_e32 v146, v128
	s_wait_alu 0xfffd
	v_add_co_ci_u32_e32 v1, vcc_lo, s3, v118, vcc_lo
	v_mov_b32_e32 v4, v128
	s_clause 0x2
	global_store_b128 v[115:116], v[32:35], off
	global_store_b128 v[86:87], v[28:31], off
	global_store_b128 v[0:1], v[36:39], off
	v_lshlrev_b64_e32 v[0:1], 4, v[145:146]
	v_mad_co_u64_u32 v[5:6], null, s0, v5, v[2:3]
	v_lshlrev_b64_e32 v[3:4], 4, v[3:4]
	v_and_or_b32 v13, 0xc0, v55, v73
	v_mov_b32_e32 v6, v128
	v_add_co_u32 v0, vcc_lo, s2, v0
	s_wait_alu 0xfffd
	v_add_co_ci_u32_e32 v1, vcc_lo, s3, v1, vcc_lo
	v_mad_co_u64_u32 v[11:12], null, s0, v13, v[2:3]
	v_mov_b32_e32 v12, v128
	global_store_b128 v[0:1], v[40:43], off
	v_lshlrev_b64_e32 v[0:1], 4, v[5:6]
	v_add_co_u32 v3, vcc_lo, s2, v3
	s_wait_alu 0xfffd
	v_add_co_ci_u32_e32 v4, vcc_lo, s3, v4, vcc_lo
	v_lshlrev_b64_e32 v[5:6], 4, v[11:12]
	s_delay_alu instid0(VALU_DEP_4) | instskip(SKIP_3) | instid1(VALU_DEP_4)
	v_add_co_u32 v0, vcc_lo, s2, v0
	s_wait_alu 0xfffd
	v_add_co_ci_u32_e32 v1, vcc_lo, s3, v1, vcc_lo
	v_or_b32_e32 v11, 32, v13
	v_add_co_u32 v5, vcc_lo, s2, v5
	v_and_or_b32 v13, 0xc0, v54, v62
	v_fma_f64 v[58:59], v[151:152], v[121:122], v[113:114]
	s_wait_alu 0xfffd
	v_add_co_ci_u32_e32 v6, vcc_lo, s3, v6, vcc_lo
	v_fma_f64 v[50:51], v[149:150], v[96:97], -v[107:108]
	v_fma_f64 v[46:47], v[46:47], v[101:102], -v[105:106]
	v_fma_f64 v[44:45], v[147:148], v[101:102], v[94:95]
	v_mad_co_u64_u32 v[11:12], null, s0, v11, v[2:3]
	s_clause 0x2
	global_store_b128 v[3:4], v[78:81], off
	global_store_b128 v[0:1], v[63:66], off
	;; [unrolled: 1-line block ×3, first 2 shown]
	v_mad_co_u64_u32 v[3:4], null, s0, v13, v[2:3]
	v_or_b32_e32 v5, 32, v13
	v_mov_b32_e32 v4, v128
	v_and_or_b32 v7, 0xc0, v53, v57
	v_mov_b32_e32 v12, v128
	s_delay_alu instid0(VALU_DEP_4) | instskip(NEXT) | instid1(VALU_DEP_4)
	v_mad_co_u64_u32 v[5:6], null, s0, v5, v[2:3]
	v_lshlrev_b64_e32 v[3:4], 4, v[3:4]
	s_delay_alu instid0(VALU_DEP_4) | instskip(NEXT) | instid1(VALU_DEP_4)
	v_or_b32_e32 v9, 32, v7
	v_lshlrev_b64_e32 v[0:1], 4, v[11:12]
	v_mov_b32_e32 v6, v128
	s_delay_alu instid0(VALU_DEP_4)
	v_mad_co_u64_u32 v[7:8], null, s0, v7, v[2:3]
	v_mov_b32_e32 v8, v128
	v_mad_co_u64_u32 v[9:10], null, s0, v9, v[2:3]
	v_add_co_u32 v0, vcc_lo, s2, v0
	v_lshlrev_b64_e32 v[5:6], 4, v[5:6]
	v_mov_b32_e32 v10, v128
	s_wait_alu 0xfffd
	v_add_co_ci_u32_e32 v1, vcc_lo, s3, v1, vcc_lo
	v_add_co_u32 v2, vcc_lo, s2, v3
	v_lshlrev_b64_e32 v[7:8], 4, v[7:8]
	s_wait_alu 0xfffd
	v_add_co_ci_u32_e32 v3, vcc_lo, s3, v4, vcc_lo
	v_add_co_u32 v4, vcc_lo, s2, v5
	v_lshlrev_b64_e32 v[9:10], 4, v[9:10]
	s_wait_alu 0xfffd
	v_add_co_ci_u32_e32 v5, vcc_lo, s3, v6, vcc_lo
	v_add_co_u32 v6, vcc_lo, s2, v7
	s_wait_alu 0xfffd
	v_add_co_ci_u32_e32 v7, vcc_lo, s3, v8, vcc_lo
	v_add_co_u32 v8, vcc_lo, s2, v9
	s_wait_alu 0xfffd
	v_add_co_ci_u32_e32 v9, vcc_lo, s3, v10, vcc_lo
	s_clause 0x4
	global_store_b128 v[0:1], v[58:61], off
	global_store_b128 v[2:3], v[74:77], off
	;; [unrolled: 1-line block ×5, first 2 shown]
.LBB0_39:
	s_nop 0
	s_sendmsg sendmsg(MSG_DEALLOC_VGPRS)
	s_endpgm
	.section	.rodata,"a",@progbits
	.p2align	6, 0x0
	.amdhsa_kernel fft_rtc_back_len64_factors_4_4_2_2_wgs_64_tpt_4_halfLds_dim2_dp_ip_CI_sbcc_twdbase6_3step_dirReg_intrinsicReadWrite
		.amdhsa_group_segment_fixed_size 0
		.amdhsa_private_segment_fixed_size 0
		.amdhsa_kernarg_size 88
		.amdhsa_user_sgpr_count 2
		.amdhsa_user_sgpr_dispatch_ptr 0
		.amdhsa_user_sgpr_queue_ptr 0
		.amdhsa_user_sgpr_kernarg_segment_ptr 1
		.amdhsa_user_sgpr_dispatch_id 0
		.amdhsa_user_sgpr_private_segment_size 0
		.amdhsa_wavefront_size32 1
		.amdhsa_uses_dynamic_stack 0
		.amdhsa_enable_private_segment 0
		.amdhsa_system_sgpr_workgroup_id_x 1
		.amdhsa_system_sgpr_workgroup_id_y 0
		.amdhsa_system_sgpr_workgroup_id_z 0
		.amdhsa_system_sgpr_workgroup_info 0
		.amdhsa_system_vgpr_workitem_id 0
		.amdhsa_next_free_vgpr 213
		.amdhsa_next_free_sgpr 20
		.amdhsa_reserve_vcc 1
		.amdhsa_float_round_mode_32 0
		.amdhsa_float_round_mode_16_64 0
		.amdhsa_float_denorm_mode_32 3
		.amdhsa_float_denorm_mode_16_64 3
		.amdhsa_fp16_overflow 0
		.amdhsa_workgroup_processor_mode 1
		.amdhsa_memory_ordered 1
		.amdhsa_forward_progress 0
		.amdhsa_round_robin_scheduling 0
		.amdhsa_exception_fp_ieee_invalid_op 0
		.amdhsa_exception_fp_denorm_src 0
		.amdhsa_exception_fp_ieee_div_zero 0
		.amdhsa_exception_fp_ieee_overflow 0
		.amdhsa_exception_fp_ieee_underflow 0
		.amdhsa_exception_fp_ieee_inexact 0
		.amdhsa_exception_int_div_zero 0
	.end_amdhsa_kernel
	.text
.Lfunc_end0:
	.size	fft_rtc_back_len64_factors_4_4_2_2_wgs_64_tpt_4_halfLds_dim2_dp_ip_CI_sbcc_twdbase6_3step_dirReg_intrinsicReadWrite, .Lfunc_end0-fft_rtc_back_len64_factors_4_4_2_2_wgs_64_tpt_4_halfLds_dim2_dp_ip_CI_sbcc_twdbase6_3step_dirReg_intrinsicReadWrite
                                        ; -- End function
	.section	.AMDGPU.csdata,"",@progbits
; Kernel info:
; codeLenInByte = 10192
; NumSgprs: 22
; NumVgprs: 213
; ScratchSize: 0
; MemoryBound: 0
; FloatMode: 240
; IeeeMode: 1
; LDSByteSize: 0 bytes/workgroup (compile time only)
; SGPRBlocks: 2
; VGPRBlocks: 26
; NumSGPRsForWavesPerEU: 22
; NumVGPRsForWavesPerEU: 213
; Occupancy: 7
; WaveLimiterHint : 1
; COMPUTE_PGM_RSRC2:SCRATCH_EN: 0
; COMPUTE_PGM_RSRC2:USER_SGPR: 2
; COMPUTE_PGM_RSRC2:TRAP_HANDLER: 0
; COMPUTE_PGM_RSRC2:TGID_X_EN: 1
; COMPUTE_PGM_RSRC2:TGID_Y_EN: 0
; COMPUTE_PGM_RSRC2:TGID_Z_EN: 0
; COMPUTE_PGM_RSRC2:TIDIG_COMP_CNT: 0
	.text
	.p2alignl 7, 3214868480
	.fill 96, 4, 3214868480
	.type	__hip_cuid_9507ff72b066264,@object ; @__hip_cuid_9507ff72b066264
	.section	.bss,"aw",@nobits
	.globl	__hip_cuid_9507ff72b066264
__hip_cuid_9507ff72b066264:
	.byte	0                               ; 0x0
	.size	__hip_cuid_9507ff72b066264, 1

	.ident	"AMD clang version 19.0.0git (https://github.com/RadeonOpenCompute/llvm-project roc-6.4.0 25133 c7fe45cf4b819c5991fe208aaa96edf142730f1d)"
	.section	".note.GNU-stack","",@progbits
	.addrsig
	.addrsig_sym __hip_cuid_9507ff72b066264
	.amdgpu_metadata
---
amdhsa.kernels:
  - .args:
      - .actual_access:  read_only
        .address_space:  global
        .offset:         0
        .size:           8
        .value_kind:     global_buffer
      - .address_space:  global
        .offset:         8
        .size:           8
        .value_kind:     global_buffer
      - .actual_access:  read_only
        .address_space:  global
        .offset:         16
        .size:           8
        .value_kind:     global_buffer
      - .actual_access:  read_only
        .address_space:  global
        .offset:         24
        .size:           8
        .value_kind:     global_buffer
      - .offset:         32
        .size:           8
        .value_kind:     by_value
      - .actual_access:  read_only
        .address_space:  global
        .offset:         40
        .size:           8
        .value_kind:     global_buffer
      - .actual_access:  read_only
        .address_space:  global
        .offset:         48
        .size:           8
        .value_kind:     global_buffer
      - .offset:         56
        .size:           4
        .value_kind:     by_value
      - .actual_access:  read_only
        .address_space:  global
        .offset:         64
        .size:           8
        .value_kind:     global_buffer
      - .actual_access:  read_only
        .address_space:  global
        .offset:         72
        .size:           8
        .value_kind:     global_buffer
      - .address_space:  global
        .offset:         80
        .size:           8
        .value_kind:     global_buffer
    .group_segment_fixed_size: 0
    .kernarg_segment_align: 8
    .kernarg_segment_size: 88
    .language:       OpenCL C
    .language_version:
      - 2
      - 0
    .max_flat_workgroup_size: 64
    .name:           fft_rtc_back_len64_factors_4_4_2_2_wgs_64_tpt_4_halfLds_dim2_dp_ip_CI_sbcc_twdbase6_3step_dirReg_intrinsicReadWrite
    .private_segment_fixed_size: 0
    .sgpr_count:     22
    .sgpr_spill_count: 0
    .symbol:         fft_rtc_back_len64_factors_4_4_2_2_wgs_64_tpt_4_halfLds_dim2_dp_ip_CI_sbcc_twdbase6_3step_dirReg_intrinsicReadWrite.kd
    .uniform_work_group_size: 1
    .uses_dynamic_stack: false
    .vgpr_count:     213
    .vgpr_spill_count: 0
    .wavefront_size: 32
    .workgroup_processor_mode: 1
amdhsa.target:   amdgcn-amd-amdhsa--gfx1201
amdhsa.version:
  - 1
  - 2
...

	.end_amdgpu_metadata
